;; amdgpu-corpus repo=ROCm/rocFFT kind=compiled arch=gfx1030 opt=O3
	.text
	.amdgcn_target "amdgcn-amd-amdhsa--gfx1030"
	.amdhsa_code_object_version 6
	.protected	bluestein_single_fwd_len1890_dim1_half_op_CI_CI ; -- Begin function bluestein_single_fwd_len1890_dim1_half_op_CI_CI
	.globl	bluestein_single_fwd_len1890_dim1_half_op_CI_CI
	.p2align	8
	.type	bluestein_single_fwd_len1890_dim1_half_op_CI_CI,@function
bluestein_single_fwd_len1890_dim1_half_op_CI_CI: ; @bluestein_single_fwd_len1890_dim1_half_op_CI_CI
; %bb.0:
	s_load_dwordx4 s[8:11], s[4:5], 0x28
	v_mul_u32_u24_e32 v1, 0x209, v0
	v_mov_b32_e32 v29, 0
	s_mov_b32 s0, exec_lo
	v_lshrrev_b32_e32 v1, 16, v1
	v_add_nc_u32_e32 v28, s6, v1
	s_waitcnt lgkmcnt(0)
	v_cmpx_gt_u64_e64 s[8:9], v[28:29]
	s_cbranch_execz .LBB0_23
; %bb.1:
	s_clause 0x1
	s_load_dwordx4 s[0:3], s[4:5], 0x18
	s_load_dwordx2 s[6:7], s[4:5], 0x0
	v_mul_lo_u16 v1, 0x7e, v1
	v_sub_nc_u16 v7, v0, v1
	v_and_b32_e32 v84, 0xffff, v7
	v_lshlrev_b32_e32 v71, 2, v84
	s_waitcnt lgkmcnt(0)
	s_load_dwordx4 s[12:15], s[0:1], 0x0
	v_add_co_u32 v62, s0, s6, v71
	v_add_co_ci_u32_e64 v61, null, s7, 0, s0
	v_add_nc_u32_e32 v8, 0x1400, v71
	v_add_co_u32 v24, vcc_lo, 0x800, v62
	v_add_co_ci_u32_e32 v25, vcc_lo, 0, v61, vcc_lo
	v_add_nc_u32_e32 v10, 0x600, v71
	s_waitcnt lgkmcnt(0)
	v_mad_u64_u32 v[0:1], null, s14, v28, 0
	v_mad_u64_u32 v[2:3], null, s12, v84, 0
	s_mul_i32 s1, s13, 0x3b1
	s_mul_hi_u32 s9, s12, 0x3b1
	s_mul_i32 s0, s12, 0x3b1
	s_mul_i32 s14, s13, 0xfffffccd
	s_add_i32 s1, s9, s1
	s_mul_i32 s8, s12, 0xfffffccd
	v_mad_u64_u32 v[4:5], null, s15, v28, v[1:2]
	v_mad_u64_u32 v[5:6], null, s13, v84, v[3:4]
	v_mov_b32_e32 v1, v4
	s_mul_hi_u32 s13, s12, 0xfffffccd
	s_sub_i32 s9, s13, s12
	s_lshl_b64 s[12:13], s[0:1], 2
	v_lshlrev_b64 v[0:1], 2, v[0:1]
	v_mov_b32_e32 v3, v5
	s_add_i32 s9, s9, s14
	s_lshl_b64 s[0:1], s[8:9], 2
	v_lshlrev_b64 v[2:3], 2, v[2:3]
	v_add_co_u32 v0, vcc_lo, s10, v0
	v_add_co_ci_u32_e32 v1, vcc_lo, s11, v1, vcc_lo
	v_add_co_u32 v0, vcc_lo, v0, v2
	v_add_co_ci_u32_e32 v1, vcc_lo, v1, v3, vcc_lo
	;; [unrolled: 2-line block ×3, first 2 shown]
	global_load_dword v6, v[0:1], off
	v_add_co_u32 v0, vcc_lo, v2, s0
	v_add_co_ci_u32_e32 v1, vcc_lo, s1, v3, vcc_lo
	s_clause 0x5
	global_load_dword v86, v71, s[6:7]
	global_load_dword v83, v71, s[6:7] offset:504
	global_load_dword v81, v71, s[6:7] offset:1008
	;; [unrolled: 1-line block ×4, first 2 shown]
	global_load_dword v85, v[24:25], off offset:1732
	s_clause 0x1
	global_load_dword v9, v[2:3], off
	global_load_dword v11, v[0:1], off
	v_add_co_u32 v0, vcc_lo, v0, s12
	v_add_co_ci_u32_e32 v1, vcc_lo, s13, v1, vcc_lo
	v_add_co_u32 v2, vcc_lo, 0x1000, v62
	v_add_co_ci_u32_e32 v3, vcc_lo, 0, v61, vcc_lo
	global_load_dword v12, v[0:1], off
	v_add_co_u32 v0, vcc_lo, v0, s0
	v_add_co_ci_u32_e32 v1, vcc_lo, s1, v1, vcc_lo
	s_clause 0x1
	global_load_dword v82, v[2:3], off offset:188
	global_load_dword v80, v[2:3], off offset:692
	v_add_co_u32 v4, vcc_lo, v0, s12
	v_add_co_ci_u32_e32 v5, vcc_lo, s13, v1, vcc_lo
	global_load_dword v13, v[0:1], off
	v_add_co_u32 v0, vcc_lo, v4, s0
	v_add_co_ci_u32_e32 v1, vcc_lo, s1, v5, vcc_lo
	global_load_dword v14, v[4:5], off
	;; [unrolled: 3-line block ×3, first 2 shown]
	v_add_co_u32 v0, vcc_lo, v4, s0
	v_add_co_ci_u32_e32 v1, vcc_lo, s1, v5, vcc_lo
	v_add_co_u32 v26, vcc_lo, 0x1800, v62
	v_add_co_ci_u32_e32 v27, vcc_lo, 0, v61, vcc_lo
	global_load_dword v4, v[4:5], off
	s_clause 0x1
	global_load_dword v78, v[2:3], off offset:1196
	global_load_dword v76, v[2:3], off offset:1700
	global_load_dword v5, v[0:1], off
	v_add_co_u32 v0, vcc_lo, v0, s12
	v_add_co_ci_u32_e32 v1, vcc_lo, s13, v1, vcc_lo
	global_load_dword v75, v[24:25], off offset:472
	v_add_co_u32 v2, vcc_lo, v0, s0
	v_add_co_ci_u32_e32 v3, vcc_lo, s1, v1, vcc_lo
	global_load_dword v16, v[0:1], off
	v_add_co_u32 v0, vcc_lo, v2, s12
	v_add_co_ci_u32_e32 v1, vcc_lo, s13, v3, vcc_lo
	global_load_dword v17, v[2:3], off
	;; [unrolled: 3-line block ×3, first 2 shown]
	v_add_co_u32 v0, vcc_lo, v2, s12
	v_add_co_ci_u32_e32 v1, vcc_lo, s13, v3, vcc_lo
	global_load_dword v74, v[26:27], off offset:156
	global_load_dword v19, v[2:3], off
	global_load_dword v20, v[0:1], off
	s_clause 0x1
	global_load_dword v72, v[26:27], off offset:660
	global_load_dword v73, v[24:25], off offset:976
	s_load_dwordx2 s[6:7], s[4:5], 0x38
	s_load_dwordx4 s[8:11], s[2:3], 0x0
	v_add_nc_u32_e32 v3, 0x1000, v71
	v_add_nc_u32_e32 v2, 0x200, v71
	v_cmp_gt_u16_e32 vcc_lo, 63, v7
	s_waitcnt vmcnt(27)
	v_lshrrev_b32_e32 v21, 16, v6
	s_waitcnt vmcnt(26)
	v_mul_f16_sdwa v22, v86, v6 dst_sel:DWORD dst_unused:UNUSED_PAD src0_sel:WORD_1 src1_sel:DWORD
	s_waitcnt vmcnt(20)
	v_lshrrev_b32_e32 v29, 16, v9
	v_mul_f16_sdwa v23, v86, v21 dst_sel:DWORD dst_unused:UNUSED_PAD src0_sel:WORD_1 src1_sel:DWORD
	v_mul_f16_sdwa v30, v85, v9 dst_sel:DWORD dst_unused:UNUSED_PAD src0_sel:WORD_1 src1_sel:DWORD
	v_fma_f16 v21, v86, v21, -v22
	s_waitcnt vmcnt(19)
	v_lshrrev_b32_e32 v22, 16, v11
	v_fmac_f16_e32 v23, v86, v6
	v_mul_f16_sdwa v6, v85, v29 dst_sel:DWORD dst_unused:UNUSED_PAD src0_sel:WORD_1 src1_sel:DWORD
	v_fma_f16 v29, v85, v29, -v30
	v_mul_f16_sdwa v30, v83, v11 dst_sel:DWORD dst_unused:UNUSED_PAD src0_sel:WORD_1 src1_sel:DWORD
	v_pack_b32_f16 v21, v23, v21
	v_fmac_f16_e32 v6, v85, v9
	v_mul_f16_sdwa v9, v83, v22 dst_sel:DWORD dst_unused:UNUSED_PAD src0_sel:WORD_1 src1_sel:DWORD
	s_waitcnt vmcnt(18)
	v_lshrrev_b32_e32 v23, 16, v12
	s_waitcnt vmcnt(17)
	v_mul_f16_sdwa v31, v82, v12 dst_sel:DWORD dst_unused:UNUSED_PAD src0_sel:WORD_1 src1_sel:DWORD
	v_fma_f16 v22, v83, v22, -v30
	v_pack_b32_f16 v6, v6, v29
	v_fmac_f16_e32 v9, v83, v11
	v_mul_f16_sdwa v11, v82, v23 dst_sel:DWORD dst_unused:UNUSED_PAD src0_sel:WORD_1 src1_sel:DWORD
	s_waitcnt vmcnt(15)
	v_lshrrev_b32_e32 v29, 16, v13
	v_fma_f16 v23, v82, v23, -v31
	v_mul_f16_sdwa v30, v81, v13 dst_sel:DWORD dst_unused:UNUSED_PAD src0_sel:WORD_1 src1_sel:DWORD
	ds_write_b32 v71, v6 offset:3780
	v_pack_b32_f16 v6, v9, v22
	v_fmac_f16_e32 v11, v82, v12
	v_mul_f16_sdwa v9, v81, v29 dst_sel:DWORD dst_unused:UNUSED_PAD src0_sel:WORD_1 src1_sel:DWORD
	s_waitcnt vmcnt(14)
	v_lshrrev_b32_e32 v22, 16, v14
	v_fma_f16 v12, v81, v29, -v30
	v_mul_f16_sdwa v29, v80, v14 dst_sel:DWORD dst_unused:UNUSED_PAD src0_sel:WORD_1 src1_sel:DWORD
	ds_write2_b32 v71, v21, v6 offset1:126
	v_pack_b32_f16 v6, v11, v23
	v_fmac_f16_e32 v9, v81, v13
	v_mul_f16_sdwa v11, v80, v22 dst_sel:DWORD dst_unused:UNUSED_PAD src0_sel:WORD_1 src1_sel:DWORD
	s_waitcnt vmcnt(13)
	v_lshrrev_b32_e32 v13, 16, v15
	v_fma_f16 v21, v80, v22, -v29
	v_mul_f16_sdwa v22, v79, v15 dst_sel:DWORD dst_unused:UNUSED_PAD src0_sel:WORD_1 src1_sel:DWORD
	v_pack_b32_f16 v9, v9, v12
	v_fmac_f16_e32 v11, v80, v14
	v_mul_f16_sdwa v12, v79, v13 dst_sel:DWORD dst_unused:UNUSED_PAD src0_sel:WORD_1 src1_sel:DWORD
	s_waitcnt vmcnt(12)
	v_lshrrev_b32_e32 v14, 16, v4
	v_fma_f16 v13, v79, v13, -v22
	s_waitcnt vmcnt(11)
	v_mul_f16_sdwa v23, v78, v4 dst_sel:DWORD dst_unused:UNUSED_PAD src0_sel:WORD_1 src1_sel:DWORD
	v_pack_b32_f16 v11, v11, v21
	v_fmac_f16_e32 v12, v79, v15
	v_mul_f16_sdwa v15, v78, v14 dst_sel:DWORD dst_unused:UNUSED_PAD src0_sel:WORD_1 src1_sel:DWORD
	s_waitcnt vmcnt(9)
	v_lshrrev_b32_e32 v21, 16, v5
	v_mul_f16_sdwa v22, v77, v5 dst_sel:DWORD dst_unused:UNUSED_PAD src0_sel:WORD_1 src1_sel:DWORD
	ds_write2_b32 v3, v6, v11 offset0:47 offset1:173
	v_pack_b32_f16 v6, v12, v13
	v_fmac_f16_e32 v15, v78, v4
	v_mul_f16_sdwa v4, v77, v21 dst_sel:DWORD dst_unused:UNUSED_PAD src0_sel:WORD_1 src1_sel:DWORD
	s_waitcnt vmcnt(7)
	v_lshrrev_b32_e32 v12, 16, v16
	v_mul_f16_sdwa v13, v76, v16 dst_sel:DWORD dst_unused:UNUSED_PAD src0_sel:WORD_1 src1_sel:DWORD
	v_fma_f16 v11, v77, v21, -v22
	v_fma_f16 v14, v78, v14, -v23
	v_fmac_f16_e32 v4, v77, v5
	s_waitcnt vmcnt(6)
	v_lshrrev_b32_e32 v5, 16, v17
	ds_write2_b32 v2, v9, v6 offset0:124 offset1:250
	v_mul_f16_sdwa v9, v76, v12 dst_sel:DWORD dst_unused:UNUSED_PAD src0_sel:WORD_1 src1_sel:DWORD
	v_fma_f16 v12, v76, v12, -v13
	v_mul_f16_sdwa v13, v75, v17 dst_sel:DWORD dst_unused:UNUSED_PAD src0_sel:WORD_1 src1_sel:DWORD
	v_pack_b32_f16 v4, v4, v11
	v_mul_f16_sdwa v11, v75, v5 dst_sel:DWORD dst_unused:UNUSED_PAD src0_sel:WORD_1 src1_sel:DWORD
	v_pack_b32_f16 v6, v15, v14
	s_waitcnt vmcnt(5)
	v_lshrrev_b32_e32 v14, 16, v18
	v_fma_f16 v5, v75, v5, -v13
	s_waitcnt vmcnt(4)
	v_mul_f16_sdwa v13, v74, v18 dst_sel:DWORD dst_unused:UNUSED_PAD src0_sel:WORD_1 src1_sel:DWORD
	s_waitcnt vmcnt(3)
	v_lshrrev_b32_e32 v15, 16, v19
	v_fmac_f16_e32 v11, v75, v17
	s_waitcnt vmcnt(2)
	v_lshrrev_b32_e32 v17, 16, v20
	v_fmac_f16_e32 v9, v76, v16
	v_mul_f16_sdwa v16, v74, v14 dst_sel:DWORD dst_unused:UNUSED_PAD src0_sel:WORD_1 src1_sel:DWORD
	v_fma_f16 v13, v74, v14, -v13
	s_waitcnt vmcnt(0)
	v_mul_f16_sdwa v14, v73, v19 dst_sel:DWORD dst_unused:UNUSED_PAD src0_sel:WORD_1 src1_sel:DWORD
	v_mul_f16_sdwa v21, v73, v15 dst_sel:DWORD dst_unused:UNUSED_PAD src0_sel:WORD_1 src1_sel:DWORD
	;; [unrolled: 1-line block ×4, first 2 shown]
	v_fmac_f16_e32 v16, v74, v18
	v_fma_f16 v14, v73, v15, -v14
	v_fmac_f16_e32 v21, v73, v19
	v_fma_f16 v15, v72, v17, -v22
	v_fmac_f16_e32 v23, v72, v20
	v_pack_b32_f16 v9, v9, v12
	v_pack_b32_f16 v5, v11, v5
	v_add_nc_u32_e32 v11, 0x1800, v71
	v_pack_b32_f16 v12, v16, v13
	v_pack_b32_f16 v13, v21, v14
	;; [unrolled: 1-line block ×3, first 2 shown]
	ds_write2_b32 v8, v6, v9 offset0:43 offset1:169
	ds_write2_b32 v10, v4, v5 offset0:120 offset1:246
	ds_write_b32 v71, v13 offset:3024
	ds_write2_b32 v11, v12, v14 offset0:39 offset1:165
	s_and_saveexec_b32 s2, vcc_lo
	s_cbranch_execz .LBB0_3
; %bb.2:
	v_add_co_u32 v0, s0, v0, s0
	v_add_co_ci_u32_e64 v1, s0, s1, v1, s0
	v_add_co_u32 v4, s0, v0, s12
	v_add_co_ci_u32_e64 v5, s0, s13, v1, s0
	global_load_dword v0, v[0:1], off
	global_load_dword v1, v[4:5], off
	s_clause 0x1
	global_load_dword v4, v[24:25], off offset:1480
	global_load_dword v5, v[26:27], off offset:1164
	s_waitcnt vmcnt(3)
	v_lshrrev_b32_e32 v6, 16, v0
	s_waitcnt vmcnt(2)
	v_lshrrev_b32_e32 v7, 16, v1
	s_waitcnt vmcnt(1)
	v_mul_f16_sdwa v9, v4, v0 dst_sel:DWORD dst_unused:UNUSED_PAD src0_sel:WORD_1 src1_sel:DWORD
	s_waitcnt vmcnt(0)
	v_mul_f16_sdwa v14, v5, v1 dst_sel:DWORD dst_unused:UNUSED_PAD src0_sel:WORD_1 src1_sel:DWORD
	v_mul_f16_sdwa v12, v4, v6 dst_sel:DWORD dst_unused:UNUSED_PAD src0_sel:WORD_1 src1_sel:DWORD
	;; [unrolled: 1-line block ×3, first 2 shown]
	v_fma_f16 v6, v4, v6, -v9
	v_fmac_f16_e32 v12, v4, v0
	v_fmac_f16_e32 v13, v5, v1
	v_fma_f16 v0, v5, v7, -v14
	v_pack_b32_f16 v1, v12, v6
	v_pack_b32_f16 v0, v13, v0
	ds_write_b32 v71, v1 offset:3528
	ds_write_b32 v71, v0 offset:7308
.LBB0_3:
	s_or_b32 exec_lo, exec_lo, s2
	v_add_nc_u32_e32 v0, 0xb00, v71
	s_waitcnt lgkmcnt(0)
	s_barrier
	buffer_gl0_inv
	ds_read2_b32 v[6:7], v71 offset1:126
	ds_read2_b32 v[0:1], v0 offset0:52 offset1:241
	ds_read2_b32 v[12:13], v3 offset0:47 offset1:173
	;; [unrolled: 1-line block ×6, first 2 shown]
	s_load_dwordx2 s[2:3], s[4:5], 0x8
                                        ; implicit-def: $vgpr16
                                        ; implicit-def: $vgpr17
	s_and_saveexec_b32 s0, vcc_lo
	s_cbranch_execz .LBB0_5
; %bb.4:
	ds_read_b32 v16, v71 offset:3528
	ds_read_b32 v17, v71 offset:7308
.LBB0_5:
	s_or_b32 exec_lo, exec_lo, s0
	v_add_co_u32 v64, s0, 0x7e, v84
	v_add_co_ci_u32_e64 v14, null, 0, 0, s0
	v_add_co_u32 v14, s0, 0x17a, v84
	v_add_co_ci_u32_e64 v15, null, 0, 0, s0
	;; [unrolled: 2-line block ×3, first 2 shown]
	s_waitcnt lgkmcnt(0)
	v_pk_add_f16 v18, v6, v1 neg_lo:[0,1] neg_hi:[0,1]
	v_pk_add_f16 v21, v4, v13 neg_lo:[0,1] neg_hi:[0,1]
	;; [unrolled: 1-line block ×3, first 2 shown]
	v_lshlrev_b16 v13, 1, v84
	v_mov_b32_e32 v8, 2
	v_pk_add_f16 v20, v7, v12 neg_lo:[0,1] neg_hi:[0,1]
	v_add_co_u32 v63, null, 0xfc, v84
	v_add_co_u32 v31, null, 0x372, v84
	v_pk_add_f16 v12, v16, v17 neg_lo:[0,1] neg_hi:[0,1]
	v_lshlrev_b32_sdwa v90, v8, v13 dst_sel:DWORD dst_unused:UNUSED_PAD src0_sel:DWORD src1_sel:WORD_0
	v_pk_fma_f16 v17, v6, 2.0, v18 op_sel_hi:[1,0,1] neg_lo:[0,0,1] neg_hi:[0,0,1]
	v_lshlrev_b32_e32 v92, 3, v64
	v_pk_fma_f16 v19, v7, 2.0, v20 op_sel_hi:[1,0,1] neg_lo:[0,0,1] neg_hi:[0,0,1]
	v_pk_add_f16 v30, v2, v9 neg_lo:[0,1] neg_hi:[0,1]
	v_lshlrev_b32_e32 v93, 3, v84
	v_pk_add_f16 v10, v3, v10 neg_lo:[0,1] neg_hi:[0,1]
	v_pk_add_f16 v1, v0, v11 neg_lo:[0,1] neg_hi:[0,1]
	s_barrier
	buffer_gl0_inv
	ds_write_b64 v90, v[17:18]
	ds_write_b64 v92, v[19:20]
	v_lshlrev_b32_e32 v87, 3, v63
	v_pk_fma_f16 v20, v4, 2.0, v21 op_sel_hi:[1,0,1] neg_lo:[0,0,1] neg_hi:[0,0,1]
	v_lshlrev_b32_e32 v88, 3, v14
	v_lshlrev_b32_e32 v91, 3, v15
	;; [unrolled: 1-line block ×3, first 2 shown]
	v_pk_fma_f16 v22, v5, 2.0, v23 op_sel_hi:[1,0,1] neg_lo:[0,0,1] neg_hi:[0,0,1]
	v_pk_fma_f16 v29, v2, 2.0, v30 op_sel_hi:[1,0,1] neg_lo:[0,0,1] neg_hi:[0,0,1]
	;; [unrolled: 1-line block ×4, first 2 shown]
	v_add_nc_u32_e32 v2, 0x1000, v93
	ds_write_b64 v87, v[20:21]
	ds_write_b64 v88, v[22:23]
	;; [unrolled: 1-line block ×3, first 2 shown]
	ds_write2_b64 v2, v[9:10], v[0:1] offset0:118 offset1:244
	s_and_saveexec_b32 s0, vcc_lo
	s_cbranch_execz .LBB0_7
; %bb.6:
	v_pk_fma_f16 v11, v16, 2.0, v12 op_sel_hi:[1,0,1] neg_lo:[0,0,1] neg_hi:[0,0,1]
	ds_write_b64 v89, v[11:12]
.LBB0_7:
	s_or_b32 exec_lo, exec_lo, s0
	v_and_b32_e32 v11, 1, v84
	s_waitcnt lgkmcnt(0)
	s_barrier
	buffer_gl0_inv
	v_add_nc_u32_e32 v5, 0x600, v71
	v_lshlrev_b32_e32 v0, 3, v11
	v_add_nc_u32_e32 v10, 0x1200, v71
	v_add_nc_u32_e32 v9, 0xa00, v71
	;; [unrolled: 1-line block ×4, first 2 shown]
	global_load_dwordx2 v[29:30], v0, s[2:3]
	ds_read2_b32 v[0:1], v71 offset1:126
	v_add_nc_u32_e32 v6, 0xe00, v71
	ds_read_b32 v31, v71 offset:7056
	ds_read2_b32 v[32:33], v5 offset0:120 offset1:246
	ds_read2_b32 v[34:35], v10 offset0:108 offset1:234
	;; [unrolled: 1-line block ×6, first 2 shown]
	v_lshrrev_b32_e32 v17, 1, v63
	v_lshrrev_b32_e32 v13, 1, v84
	;; [unrolled: 1-line block ×5, first 2 shown]
	v_mul_u32_u24_e32 v17, 6, v17
	v_mov_b32_e32 v20, 0xaaab
	v_and_b32_e32 v3, 0xff, v84
	v_mul_u32_u24_e32 v13, 6, v13
	v_mul_u32_u24_e32 v16, 6, v16
	v_or_b32_e32 v47, v17, v11
	v_mul_u32_u24_e32 v18, 6, v18
	v_mul_u32_u24_e32 v19, 6, v19
	v_mul_u32_u24_sdwa v23, v63, v20 dst_sel:DWORD dst_unused:UNUSED_PAD src0_sel:WORD_0 src1_sel:DWORD
	s_waitcnt lgkmcnt(5)
	v_lshrrev_b32_e32 v57, 16, v33
	s_waitcnt lgkmcnt(4)
	v_lshrrev_b32_e32 v49, 16, v34
	;; [unrolled: 2-line block ×3, first 2 shown]
	v_lshrrev_b32_e32 v51, 16, v35
	v_lshrrev_b32_e32 v52, 16, v37
	s_waitcnt lgkmcnt(1)
	v_lshrrev_b32_e32 v53, 16, v40
	v_and_b32_e32 v2, 0xff, v64
	v_mul_u32_u24_sdwa v44, v14, v20 dst_sel:DWORD dst_unused:UNUSED_PAD src0_sel:WORD_0 src1_sel:DWORD
	v_lshlrev_b32_e32 v95, 2, v47
	v_lshrrev_b32_e32 v47, 16, v31
	s_waitcnt lgkmcnt(0)
	v_lshrrev_b32_e32 v54, 16, v42
	v_lshrrev_b32_e32 v55, 16, v41
	;; [unrolled: 1-line block ×3, first 2 shown]
	v_mul_u32_u24_sdwa v20, v15, v20 dst_sel:DWORD dst_unused:UNUSED_PAD src0_sel:WORD_0 src1_sel:DWORD
	v_mul_lo_u16 v21, 0xab, v3
	v_or_b32_e32 v45, v13, v11
	v_or_b32_e32 v46, v16, v11
	v_or_b32_e32 v48, v18, v11
	v_or_b32_e32 v19, v19, v11
	v_lshrrev_b32_e32 v11, 18, v23
	v_mul_lo_u16 v22, 0xab, v2
	v_lshrrev_b32_e32 v13, 18, v44
	v_lshrrev_b32_e32 v16, 18, v20
	v_lshrrev_b16 v17, 10, v21
	v_mul_lo_u16 v21, v11, 6
	v_lshrrev_b16 v18, 10, v22
	v_lshlrev_b32_e32 v96, 2, v46
	v_lshlrev_b32_e32 v94, 2, v48
	v_mul_lo_u16 v22, v13, 6
	v_lshrrev_b32_e32 v46, 16, v0
	v_lshrrev_b32_e32 v48, 16, v1
	v_mul_lo_u16 v23, v16, 6
	v_sub_nc_u16 v21, v63, v21
	v_lshrrev_b32_e32 v58, 16, v38
	v_sub_nc_u16 v22, v14, v22
	v_lshrrev_b32_e32 v59, 16, v39
	v_lshrrev_b32_e32 v60, 16, v32
	v_lshlrev_b32_e32 v98, 2, v19
	v_mul_lo_u16 v19, v17, 6
	v_sub_nc_u16 v23, v15, v23
	v_mul_lo_u16 v20, v18, 6
	v_lshlrev_b16 v44, 3, v21
	v_lshlrev_b32_e32 v97, 2, v45
	v_lshlrev_b16 v45, 3, v22
	v_sub_nc_u16 v19, v84, v19
	v_lshlrev_b16 v65, 3, v23
	v_sub_nc_u16 v20, v64, v20
	v_and_b32_e32 v44, 0xffff, v44
	v_and_b32_e32 v68, 0xffff, v45
	;; [unrolled: 1-line block ×5, first 2 shown]
	v_add_co_u32 v44, s0, s2, v44
	s_waitcnt vmcnt(0)
	s_barrier
	buffer_gl0_inv
	v_add_co_ci_u32_e64 v45, null, s3, 0, s0
	v_lshlrev_b32_e32 v66, 3, v19
	v_lshlrev_b32_e32 v67, 3, v20
	v_mad_u16 v11, v11, 18, v21
	v_mad_u16 v13, v13, 18, v22
	v_mul_f16_sdwa v69, v49, v30 dst_sel:DWORD dst_unused:UNUSED_PAD src0_sel:DWORD src1_sel:WORD_1
	v_mul_f16_sdwa v70, v34, v30 dst_sel:DWORD dst_unused:UNUSED_PAD src0_sel:DWORD src1_sel:WORD_1
	;; [unrolled: 1-line block ×20, first 2 shown]
	v_fma_f16 v34, v34, v30, -v69
	v_fma_f16 v35, v35, v30, -v101
	v_fma_f16 v36, v36, v29, -v99
	v_fmac_f16_e32 v70, v49, v30
	v_fmac_f16_e32 v100, v50, v29
	;; [unrolled: 1-line block ×4, first 2 shown]
	v_fma_f16 v33, v33, v29, -v114
	v_fma_f16 v37, v37, v29, -v103
	;; [unrolled: 1-line block ×3, first 2 shown]
	v_fmac_f16_e32 v104, v52, v29
	v_fmac_f16_e32 v106, v53, v30
	v_fma_f16 v41, v41, v30, -v107
	v_fma_f16 v42, v42, v29, -v108
	;; [unrolled: 1-line block ×3, first 2 shown]
	v_fmac_f16_e32 v111, v54, v29
	v_fmac_f16_e32 v110, v55, v30
	;; [unrolled: 1-line block ×3, first 2 shown]
	v_fma_f16 v31, v31, v30, -v115
	v_fmac_f16_e32 v116, v47, v30
	v_add_f16_e32 v47, v36, v35
	v_add_f16_e32 v50, v100, v102
	;; [unrolled: 1-line block ×7, first 2 shown]
	v_sub_f16_e32 v51, v100, v102
	v_add_f16_e32 v52, v48, v100
	v_sub_f16_e32 v36, v36, v35
	v_add_f16_e32 v54, v0, v33
	v_add_f16_e32 v55, v46, v113
	v_sub_f16_e32 v33, v33, v34
	v_sub_f16_e32 v57, v113, v70
	v_add_f16_e32 v105, v42, v41
	v_add_f16_e32 v109, v111, v110
	;; [unrolled: 1-line block ×4, first 2 shown]
	v_fmac_f16_e32 v1, -0.5, v47
	v_fmac_f16_e32 v48, -0.5, v50
	v_fma_f16 v0, -0.5, v53, v0
	v_fmac_f16_e32 v46, -0.5, v56
	v_add_f16_e32 v69, v38, v37
	v_sub_f16_e32 v100, v104, v106
	v_add_f16_e32 v101, v58, v104
	v_sub_f16_e32 v37, v37, v40
	v_fmac_f16_e32 v58, -0.5, v103
	v_fma_f16 v38, -0.5, v99, v38
	v_add_f16_e32 v104, v39, v42
	v_add_f16_e32 v107, v59, v111
	v_sub_f16_e32 v42, v42, v41
	v_sub_f16_e32 v108, v111, v110
	v_add_f16_e32 v111, v32, v43
	v_sub_f16_e32 v43, v43, v31
	v_add_f16_e32 v114, v60, v112
	;; [unrolled: 2-line block ×3, first 2 shown]
	v_add_f16_e32 v47, v55, v70
	v_fmac_f16_e32 v39, -0.5, v105
	v_fmac_f16_e32 v59, -0.5, v109
	v_fmac_f16_e32 v32, -0.5, v113
	v_fmac_f16_e32 v60, -0.5, v115
	v_fmamk_f16 v54, v51, 0x3aee, v1
	v_fmac_f16_e32 v1, 0xbaee, v51
	v_fmamk_f16 v51, v36, 0xbaee, v48
	v_fmac_f16_e32 v48, 0x3aee, v36
	v_fmamk_f16 v36, v57, 0x3aee, v0
	v_fmamk_f16 v55, v33, 0xbaee, v46
	v_fmac_f16_e32 v0, 0xbaee, v57
	v_fmac_f16_e32 v46, 0x3aee, v33
	v_add_f16_e32 v35, v49, v35
	v_add_f16_e32 v49, v52, v102
	;; [unrolled: 1-line block ×4, first 2 shown]
	v_fmamk_f16 v33, v100, 0x3aee, v38
	v_fmamk_f16 v56, v37, 0xbaee, v58
	v_add_f16_e32 v41, v104, v41
	v_add_f16_e32 v52, v107, v110
	;; [unrolled: 1-line block ×4, first 2 shown]
	v_fmac_f16_e32 v38, 0xbaee, v100
	v_fmac_f16_e32 v58, 0x3aee, v37
	v_fmamk_f16 v37, v108, 0x3aee, v39
	v_fmac_f16_e32 v39, 0xbaee, v108
	v_fmamk_f16 v57, v42, 0xbaee, v59
	;; [unrolled: 2-line block ×4, first 2 shown]
	v_fmac_f16_e32 v60, 0x3aee, v43
	v_pack_b32_f16 v34, v34, v47
	v_pack_b32_f16 v36, v36, v55
	;; [unrolled: 1-line block ×15, first 2 shown]
	ds_write2_b32 v97, v34, v36 offset1:2
	ds_write_b32 v97, v0 offset:16
	ds_write2_b32 v96, v35, v43 offset1:2
	ds_write_b32 v96, v1 offset:16
	;; [unrolled: 2-line block ×5, first 2 shown]
	v_add_co_u32 v0, s0, s2, v68
	v_add_co_ci_u32_e64 v1, null, s3, 0, s0
	v_add_co_u32 v31, s0, s2, v65
	v_add_co_ci_u32_e64 v32, null, s3, 0, s0
	s_waitcnt lgkmcnt(0)
	s_barrier
	buffer_gl0_inv
	s_clause 0x4
	global_load_dwordx2 v[39:40], v66, s[2:3] offset:16
	global_load_dwordx2 v[37:38], v67, s[2:3] offset:16
	global_load_dwordx2 v[35:36], v[44:45], off offset:16
	global_load_dwordx2 v[33:34], v[0:1], off offset:16
	;; [unrolled: 1-line block ×3, first 2 shown]
	v_mov_b32_e32 v0, 0xe38f
	v_mul_lo_u16 v41, v3, 57
	v_mul_lo_u16 v42, v2, 57
	v_mov_b32_e32 v1, 18
	v_lshlrev_b32_sdwa v101, v8, v13 dst_sel:DWORD dst_unused:UNUSED_PAD src0_sel:DWORD src1_sel:WORD_0
	v_mul_u32_u24_sdwa v43, v63, v0 dst_sel:DWORD dst_unused:UNUSED_PAD src0_sel:WORD_0 src1_sel:DWORD
	v_mul_u32_u24_sdwa v44, v14, v0 dst_sel:DWORD dst_unused:UNUSED_PAD src0_sel:WORD_0 src1_sel:DWORD
	;; [unrolled: 1-line block ×3, first 2 shown]
	v_lshrrev_b16 v53, 10, v41
	v_lshrrev_b16 v54, 10, v42
	v_lshrrev_b32_e32 v55, 20, v43
	v_lshrrev_b32_e32 v56, 20, v44
	;; [unrolled: 1-line block ×3, first 2 shown]
	v_mul_u32_u24_sdwa v0, v17, v1 dst_sel:DWORD dst_unused:UNUSED_PAD src0_sel:WORD_0 src1_sel:DWORD
	v_mul_u32_u24_sdwa v1, v18, v1 dst_sel:DWORD dst_unused:UNUSED_PAD src0_sel:WORD_0 src1_sel:DWORD
	v_mul_lo_u16 v41, v55, 18
	v_mul_lo_u16 v42, v56, 18
	;; [unrolled: 1-line block ×5, first 2 shown]
	v_sub_nc_u16 v58, v63, v41
	v_sub_nc_u16 v59, v14, v42
	;; [unrolled: 1-line block ×4, first 2 shown]
	v_mad_u16 v14, v16, 18, v23
	v_lshlrev_b16 v21, 3, v58
	v_lshlrev_b16 v22, 3, v59
	v_sub_nc_u16 v60, v15, v43
	v_and_b32_e32 v23, 0xff, v17
	v_and_b32_e32 v65, 0xff, v18
	v_add_lshl_u32 v104, v0, v19, 2
	v_add_lshl_u32 v103, v1, v20, 2
	v_lshlrev_b32_sdwa v100, v8, v14 dst_sel:DWORD dst_unused:UNUSED_PAD src0_sel:DWORD src1_sel:WORD_0
	ds_read2_b32 v[0:1], v10 offset0:108 offset1:234
	ds_read2_b32 v[13:14], v9 offset0:116 offset1:242
	;; [unrolled: 1-line block ×4, first 2 shown]
	v_and_b32_e32 v43, 0xffff, v21
	v_and_b32_e32 v46, 0xffff, v22
	ds_read_b32 v47, v71 offset:7056
	ds_read2_b32 v[19:20], v71 offset1:126
	ds_read2_b32 v[21:22], v5 offset0:120 offset1:246
	v_lshlrev_b16 v41, 3, v60
	v_lshlrev_b32_sdwa v102, v8, v11 dst_sel:DWORD dst_unused:UNUSED_PAD src0_sel:DWORD src1_sel:WORD_0
	v_add_co_u32 v43, s0, s2, v43
	v_lshlrev_b32_e32 v11, 3, v23
	v_and_b32_e32 v66, 0xffff, v41
	ds_read2_b32 v[41:42], v4 offset0:124 offset1:250
	v_lshlrev_b32_e32 v45, 3, v65
	v_add_co_ci_u32_e64 v44, null, s3, 0, s0
	s_waitcnt vmcnt(0) lgkmcnt(0)
	s_barrier
	buffer_gl0_inv
	v_lshrrev_b32_e32 v48, 16, v0
	v_lshrrev_b32_e32 v49, 16, v13
	;; [unrolled: 1-line block ×15, first 2 shown]
	v_mul_f16_sdwa v112, v49, v37 dst_sel:DWORD dst_unused:UNUSED_PAD src0_sel:DWORD src1_sel:WORD_1
	v_mul_f16_sdwa v110, v48, v40 dst_sel:DWORD dst_unused:UNUSED_PAD src0_sel:DWORD src1_sel:WORD_1
	;; [unrolled: 1-line block ×20, first 2 shown]
	v_fma_f16 v0, v0, v40, -v110
	v_fmac_f16_e32 v111, v48, v40
	v_fmac_f16_e32 v124, v67, v33
	;; [unrolled: 1-line block ×4, first 2 shown]
	v_fma_f16 v22, v22, v39, -v129
	v_fma_f16 v1, v1, v38, -v113
	;; [unrolled: 1-line block ×3, first 2 shown]
	v_fmac_f16_e32 v114, v49, v37
	v_fmac_f16_e32 v115, v50, v38
	v_fma_f16 v14, v14, v35, -v116
	v_fma_f16 v15, v15, v36, -v117
	v_fmac_f16_e32 v119, v51, v35
	v_fmac_f16_e32 v120, v52, v36
	v_fma_f16 v16, v16, v34, -v118
	v_fma_f16 v17, v17, v33, -v122
	;; [unrolled: 1-line block ×3, first 2 shown]
	v_fmac_f16_e32 v125, v69, v31
	v_fma_f16 v47, v47, v32, -v126
	v_fmac_f16_e32 v127, v70, v32
	v_add_f16_e32 v67, v22, v0
	v_add_f16_e32 v105, v124, v121
	;; [unrolled: 1-line block ×11, first 2 shown]
	v_sub_f16_e32 v17, v17, v16
	v_sub_f16_e32 v22, v22, v0
	v_add_f16_e32 v116, v106, v128
	v_sub_f16_e32 v118, v128, v111
	v_add_f16_e32 v126, v18, v47
	v_add_f16_e32 v129, v125, v127
	v_fma_f16 v19, -0.5, v67, v19
	v_fmac_f16_e32 v107, -0.5, v105
	v_fmac_f16_e32 v106, -0.5, v117
	v_add_f16_e32 v49, v20, v13
	v_add_f16_e32 v51, v99, v114
	v_sub_f16_e32 v52, v114, v115
	v_sub_f16_e32 v13, v13, v1
	;; [unrolled: 1-line block ×3, first 2 shown]
	v_add_f16_e32 v124, v21, v18
	v_add_f16_e32 v128, v109, v125
	v_fmac_f16_e32 v20, -0.5, v48
	v_fmac_f16_e32 v99, -0.5, v50
	v_add_f16_e32 v114, v41, v14
	v_sub_f16_e32 v14, v14, v15
	v_add_f16_e32 v122, v108, v119
	v_sub_f16_e32 v119, v119, v120
	v_fma_f16 v41, -0.5, v113, v41
	v_fmac_f16_e32 v108, -0.5, v123
	v_sub_f16_e32 v18, v18, v47
	v_sub_f16_e32 v125, v125, v127
	v_fmac_f16_e32 v42, -0.5, v69
	v_add_f16_e32 v0, v68, v0
	v_add_f16_e32 v48, v116, v111
	;; [unrolled: 1-line block ×3, first 2 shown]
	v_fmac_f16_e32 v21, -0.5, v126
	v_fmac_f16_e32 v109, -0.5, v129
	v_fmamk_f16 v69, v17, 0xbaee, v107
	v_fmac_f16_e32 v107, 0x3aee, v17
	v_fmamk_f16 v17, v118, 0x3aee, v19
	v_fmamk_f16 v70, v22, 0xbaee, v106
	v_fmac_f16_e32 v19, 0xbaee, v118
	v_fmac_f16_e32 v106, 0x3aee, v22
	v_add_f16_e32 v1, v49, v1
	v_add_f16_e32 v49, v51, v115
	v_add_f16_e32 v47, v124, v47
	v_add_f16_e32 v67, v128, v127
	v_fmamk_f16 v68, v52, 0x3aee, v20
	v_fmac_f16_e32 v20, 0xbaee, v52
	v_fmamk_f16 v52, v13, 0xbaee, v99
	v_fmac_f16_e32 v99, 0x3aee, v13
	v_add_f16_e32 v15, v114, v15
	v_add_f16_e32 v50, v122, v120
	v_fmamk_f16 v22, v119, 0x3aee, v41
	v_fmamk_f16 v105, v14, 0xbaee, v108
	v_add_f16_e32 v51, v110, v121
	v_fmamk_f16 v13, v112, 0x3aee, v42
	v_fmac_f16_e32 v42, 0xbaee, v112
	v_fmac_f16_e32 v41, 0xbaee, v119
	;; [unrolled: 1-line block ×3, first 2 shown]
	v_fmamk_f16 v14, v125, 0x3aee, v21
	v_fmac_f16_e32 v21, 0xbaee, v125
	v_fmamk_f16 v110, v18, 0xbaee, v109
	v_fmac_f16_e32 v109, 0x3aee, v18
	v_pack_b32_f16 v0, v0, v48
	v_pack_b32_f16 v17, v17, v70
	;; [unrolled: 1-line block ×15, first 2 shown]
	ds_write2_b32 v104, v0, v17 offset1:6
	ds_write_b32 v104, v19 offset:48
	ds_write2_b32 v103, v1, v47 offset1:6
	ds_write_b32 v103, v20 offset:48
	;; [unrolled: 2-line block ×5, first 2 shown]
	v_add_co_u32 v0, s0, s2, v46
	v_add_co_ci_u32_e64 v1, null, s3, 0, s0
	v_add_co_u32 v13, s0, s2, v66
	s_waitcnt lgkmcnt(0)
	s_barrier
	buffer_gl0_inv
	s_clause 0x1
	global_load_dwordx2 v[51:52], v11, s[2:3] offset:64
	global_load_dwordx2 v[49:50], v45, s[2:3] offset:64
	v_add_co_ci_u32_e64 v14, null, s3, 0, s0
	s_clause 0x2
	global_load_dwordx2 v[47:48], v[43:44], off offset:64
	global_load_dwordx2 v[45:46], v[0:1], off offset:64
	;; [unrolled: 1-line block ×3, first 2 shown]
	ds_read2_b32 v[0:1], v10 offset0:108 offset1:234
	ds_read2_b32 v[9:10], v9 offset0:116 offset1:242
	ds_read2_b32 v[15:16], v71 offset1:126
	ds_read2_b32 v[13:14], v5 offset0:120 offset1:246
	ds_read2_b32 v[17:18], v7 offset0:104 offset1:230
	;; [unrolled: 1-line block ×4, first 2 shown]
	ds_read_b32 v4, v71 offset:7056
	v_mov_b32_e32 v11, 54
	v_mad_u16 v7, v57, 54, v60
	v_add_nc_u32_e32 v21, 0x400, v71
	v_add_nc_u32_e32 v22, 0x800, v71
	;; [unrolled: 1-line block ×3, first 2 shown]
	v_mul_u32_u24_sdwa v53, v53, v11 dst_sel:DWORD dst_unused:UNUSED_PAD src0_sel:WORD_0 src1_sel:DWORD
	v_mul_u32_u24_sdwa v11, v54, v11 dst_sel:DWORD dst_unused:UNUSED_PAD src0_sel:WORD_0 src1_sel:DWORD
	v_mad_u16 v54, v55, 54, v58
	v_mad_u16 v55, v56, 54, v59
	v_lshlrev_b32_sdwa v105, v8, v7 dst_sel:DWORD dst_unused:UNUSED_PAD src0_sel:DWORD src1_sel:WORD_0
	v_add_lshl_u32 v109, v53, v23, 2
	v_add_lshl_u32 v108, v11, v65, 2
	v_lshlrev_b32_sdwa v107, v8, v54 dst_sel:DWORD dst_unused:UNUSED_PAD src0_sel:DWORD src1_sel:WORD_0
	v_lshlrev_b32_sdwa v106, v8, v55 dst_sel:DWORD dst_unused:UNUSED_PAD src0_sel:DWORD src1_sel:WORD_0
	s_waitcnt lgkmcnt(6)
	v_lshrrev_b32_e32 v11, 16, v9
	v_lshrrev_b32_e32 v7, 16, v0
	v_lshrrev_b32_e32 v8, 16, v1
	s_waitcnt lgkmcnt(4)
	v_lshrrev_b32_e32 v53, 16, v14
	v_lshrrev_b32_e32 v55, 16, v10
	s_waitcnt lgkmcnt(3)
	v_lshrrev_b32_e32 v56, 16, v17
	v_lshrrev_b32_e32 v57, 16, v18
	;; [unrolled: 3-line block ×4, first 2 shown]
	v_lshrrev_b32_e32 v23, 16, v16
	v_lshrrev_b32_e32 v60, 16, v19
	;; [unrolled: 1-line block ×4, first 2 shown]
	v_add_nc_u32_e32 v42, 0x1000, v71
	v_add_nc_u32_e32 v66, 0x1400, v71
	;; [unrolled: 1-line block ×3, first 2 shown]
	s_waitcnt vmcnt(0)
	s_barrier
	buffer_gl0_inv
	v_cmp_gt_u16_e64 s0, 18, v84
	v_mul_f16_sdwa v70, v7, v52 dst_sel:DWORD dst_unused:UNUSED_PAD src0_sel:DWORD src1_sel:WORD_1
	v_mul_f16_sdwa v99, v8, v50 dst_sel:DWORD dst_unused:UNUSED_PAD src0_sel:DWORD src1_sel:WORD_1
	;; [unrolled: 1-line block ×20, first 2 shown]
	v_fma_f16 v0, v0, v52, -v70
	v_fma_f16 v1, v1, v50, -v99
	v_fmac_f16_e32 v110, v7, v52
	v_fmac_f16_e32 v112, v11, v49
	v_fma_f16 v7, v9, v49, -v113
	v_fmac_f16_e32 v111, v8, v50
	v_fmac_f16_e32 v114, v53, v51
	v_fma_f16 v8, v14, v51, -v115
	v_fma_f16 v9, v10, v47, -v116
	;; [unrolled: 1-line block ×4, first 2 shown]
	v_fmac_f16_e32 v117, v55, v47
	v_fmac_f16_e32 v120, v56, v48
	;; [unrolled: 1-line block ×4, first 2 shown]
	v_fma_f16 v5, v5, v45, -v123
	v_fma_f16 v6, v6, v43, -v124
	v_fmac_f16_e32 v125, v68, v43
	v_fma_f16 v4, v4, v44, -v126
	v_fmac_f16_e32 v127, v69, v44
	v_add_f16_e32 v14, v7, v1
	v_add_f16_e32 v18, v112, v111
	;; [unrolled: 1-line block ×8, first 2 shown]
	v_sub_f16_e32 v55, v112, v111
	v_add_f16_e32 v70, v5, v11
	v_add_f16_e32 v112, v122, v121
	;; [unrolled: 1-line block ×8, first 2 shown]
	v_sub_f16_e32 v7, v7, v1
	v_sub_f16_e32 v8, v8, v0
	;; [unrolled: 1-line block ×3, first 2 shown]
	v_fmac_f16_e32 v16, -0.5, v14
	v_fmac_f16_e32 v23, -0.5, v18
	v_fma_f16 v14, -0.5, v56, v15
	v_add_f16_e32 v0, v57, v0
	v_add_f16_e32 v15, v58, v110
	v_fmac_f16_e32 v54, -0.5, v68
	v_add_f16_e32 v99, v20, v5
	v_add_f16_e32 v113, v59, v122
	v_sub_f16_e32 v114, v122, v121
	v_sub_f16_e32 v5, v5, v11
	;; [unrolled: 1-line block ×4, first 2 shown]
	v_add_f16_e32 v122, v13, v6
	v_sub_f16_e32 v6, v6, v4
	v_add_f16_e32 v124, v65, v125
	v_sub_f16_e32 v125, v125, v127
	v_add_f16_e32 v1, v17, v1
	v_add_f16_e32 v17, v53, v111
	v_fmac_f16_e32 v20, -0.5, v70
	v_fmac_f16_e32 v59, -0.5, v112
	v_fma_f16 v18, -0.5, v115, v19
	v_add_f16_e32 v19, v118, v120
	v_add_f16_e32 v10, v116, v10
	v_fmac_f16_e32 v60, -0.5, v119
	v_fmac_f16_e32 v13, -0.5, v123
	;; [unrolled: 1-line block ×3, first 2 shown]
	v_fmamk_f16 v57, v55, 0x3aee, v16
	v_fmac_f16_e32 v16, 0xbaee, v55
	v_fmamk_f16 v55, v7, 0xbaee, v23
	v_fmac_f16_e32 v23, 0x3aee, v7
	v_pack_b32_f16 v0, v0, v15
	v_fmamk_f16 v7, v69, 0x3aee, v14
	v_fmamk_f16 v15, v8, 0xbaee, v54
	v_fmac_f16_e32 v14, 0xbaee, v69
	v_fmac_f16_e32 v54, 0x3aee, v8
	v_add_f16_e32 v11, v99, v11
	v_add_f16_e32 v53, v113, v121
	v_pack_b32_f16 v1, v1, v17
	v_fmamk_f16 v8, v114, 0x3aee, v20
	v_fmac_f16_e32 v20, 0xbaee, v114
	v_fmamk_f16 v17, v5, 0xbaee, v59
	v_fmac_f16_e32 v59, 0x3aee, v5
	v_pack_b32_f16 v5, v10, v19
	v_fmamk_f16 v10, v117, 0x3aee, v18
	v_fmamk_f16 v19, v9, 0xbaee, v60
	v_fmac_f16_e32 v18, 0xbaee, v117
	v_fmac_f16_e32 v60, 0x3aee, v9
	v_fmamk_f16 v9, v125, 0x3aee, v13
	v_fmac_f16_e32 v13, 0xbaee, v125
	v_fmamk_f16 v58, v6, 0xbaee, v65
	v_fmac_f16_e32 v65, 0x3aee, v6
	v_add_f16_e32 v4, v122, v4
	v_add_f16_e32 v56, v124, v127
	v_pack_b32_f16 v7, v7, v15
	v_pack_b32_f16 v14, v14, v54
	;; [unrolled: 1-line block ×12, first 2 shown]
	ds_write2_b32 v109, v0, v7 offset1:18
	ds_write_b32 v109, v14 offset:144
	ds_write2_b32 v108, v1, v15 offset1:18
	ds_write_b32 v108, v11 offset:144
	;; [unrolled: 2-line block ×5, first 2 shown]
	s_waitcnt lgkmcnt(0)
	s_barrier
	buffer_gl0_inv
	ds_read2_b32 v[59:60], v21 offset0:14 offset1:140
	ds_read2_b32 v[57:58], v22 offset0:28 offset1:154
	;; [unrolled: 1-line block ×6, first 2 shown]
	ds_read2_b32 v[14:15], v71 offset1:126
                                        ; implicit-def: $vgpr66
                                        ; implicit-def: $vgpr112
                                        ; implicit-def: $vgpr67
                                        ; implicit-def: $vgpr113
                                        ; implicit-def: $vgpr70
                                        ; implicit-def: $vgpr114
                                        ; implicit-def: $vgpr69
                                        ; implicit-def: $vgpr115
                                        ; implicit-def: $vgpr68
                                        ; implicit-def: $vgpr116
	s_and_saveexec_b32 s1, s0
	s_cbranch_execz .LBB0_9
; %bb.8:
	ds_read_b32 v13, v71 offset:1008
	ds_read_b32 v68, v71 offset:3168
	ds_read_b32 v66, v71 offset:4248
	ds_read_b32 v69, v71 offset:5328
	ds_read_b32 v67, v71 offset:6408
	ds_read_b32 v70, v71 offset:7488
	ds_read_b32 v12, v71 offset:2088
	s_waitcnt lgkmcnt(6)
	v_lshrrev_b32_e32 v65, 16, v13
	s_waitcnt lgkmcnt(5)
	v_lshrrev_b32_e32 v116, 16, v68
	;; [unrolled: 2-line block ×6, first 2 shown]
.LBB0_9:
	s_or_b32 exec_lo, exec_lo, s1
	v_mul_lo_u16 v0, v3, 19
	v_mul_lo_u16 v1, v2, 19
	v_lshrrev_b16 v4, 1, v63
	v_mov_b32_e32 v5, 0x97b5
	v_mov_b32_e32 v122, 0x17a
	v_lshrrev_b16 v110, 10, v0
	v_lshrrev_b16 v111, 10, v1
	s_waitcnt lgkmcnt(6)
	v_lshrrev_b32_e32 v119, 16, v59
	s_waitcnt lgkmcnt(5)
	v_lshrrev_b32_e32 v120, 16, v57
	;; [unrolled: 2-line block ×3, first 2 shown]
	v_mul_lo_u16 v0, v110, 54
	v_mul_lo_u16 v2, v111, 54
	v_mul_u32_u24_sdwa v110, v110, v122 dst_sel:DWORD dst_unused:UNUSED_PAD src0_sel:WORD_0 src1_sel:DWORD
	v_mul_u32_u24_sdwa v122, v111, v122 dst_sel:DWORD dst_unused:UNUSED_PAD src0_sel:WORD_0 src1_sel:DWORD
	s_waitcnt lgkmcnt(3)
	v_lshrrev_b32_e32 v123, 16, v20
	v_sub_nc_u16 v0, v84, v0
	v_sub_nc_u16 v2, v64, v2
	s_waitcnt lgkmcnt(2)
	v_lshrrev_b32_e32 v124, 16, v18
	s_waitcnt lgkmcnt(1)
	v_lshrrev_b32_e32 v125, 16, v16
	v_lshrrev_b32_e32 v126, 16, v60
	v_and_b32_e32 v117, 0xff, v0
	v_and_b32_e32 v118, 0xff, v2
	v_lshrrev_b32_e32 v127, 16, v58
	v_lshrrev_b32_e32 v128, 16, v23
	;; [unrolled: 1-line block ×3, first 2 shown]
	v_mad_u64_u32 v[0:1], null, v117, 24, s[2:3]
	v_mad_u64_u32 v[2:3], null, v118, 24, s[2:3]
	v_add_lshl_u32 v111, v110, v117, 2
	v_add_lshl_u32 v110, v122, v118, 2
	v_lshrrev_b32_e32 v117, 16, v19
	v_lshrrev_b32_e32 v118, 16, v17
	s_clause 0x1
	global_load_dwordx4 v[8:11], v[0:1], off offset:208
	global_load_dwordx2 v[55:56], v[0:1], off offset:224
	v_mul_u32_u24_sdwa v0, v4, v5 dst_sel:DWORD dst_unused:UNUSED_PAD src0_sel:WORD_0 src1_sel:DWORD
	s_clause 0x1
	global_load_dwordx4 v[4:7], v[2:3], off offset:208
	global_load_dwordx2 v[53:54], v[2:3], off offset:224
	s_waitcnt lgkmcnt(0)
	v_lshrrev_b32_e32 v122, 16, v12
	v_add_nc_u32_e32 v130, 0x200, v111
	v_lshrrev_b32_e32 v0, 20, v0
	v_add_nc_u32_e32 v131, 0x200, v110
	v_mul_lo_u16 v0, v0, 54
	v_sub_nc_u16 v99, v63, v0
	v_mul_lo_u16 v0, v99, 24
	v_and_b32_e32 v0, 0xffff, v0
	v_add_co_u32 v41, s1, s2, v0
	v_add_co_ci_u32_e64 v42, null, s3, 0, s1
	s_clause 0x1
	global_load_dwordx4 v[0:3], v[41:42], off offset:208
	global_load_dwordx2 v[41:42], v[41:42], off offset:224
	s_waitcnt vmcnt(0)
	s_barrier
	buffer_gl0_inv
	v_mul_f16_sdwa v132, v119, v8 dst_sel:DWORD dst_unused:UNUSED_PAD src0_sel:DWORD src1_sel:WORD_1
	v_mul_f16_sdwa v133, v59, v8 dst_sel:DWORD dst_unused:UNUSED_PAD src0_sel:DWORD src1_sel:WORD_1
	;; [unrolled: 1-line block ×24, first 2 shown]
	v_fma_f16 v59, v59, v8, -v132
	v_fmac_f16_e32 v133, v119, v8
	v_fma_f16 v57, v57, v9, -v134
	v_fmac_f16_e32 v135, v120, v9
	;; [unrolled: 2-line block ×12, first 2 shown]
	v_mul_f16_sdwa v117, v122, v0 dst_sel:DWORD dst_unused:UNUSED_PAD src0_sel:DWORD src1_sel:WORD_1
	v_mul_f16_sdwa v118, v12, v0 dst_sel:DWORD dst_unused:UNUSED_PAD src0_sel:DWORD src1_sel:WORD_1
	;; [unrolled: 1-line block ×12, first 2 shown]
	v_add_f16_e32 v132, v59, v16
	v_add_f16_e32 v134, v133, v143
	v_sub_f16_e32 v16, v59, v16
	v_sub_f16_e32 v59, v133, v143
	v_add_f16_e32 v133, v57, v18
	v_add_f16_e32 v136, v135, v141
	v_sub_f16_e32 v18, v57, v18
	v_sub_f16_e32 v57, v135, v141
	;; [unrolled: 4-line block ×3, first 2 shown]
	v_add_f16_e32 v137, v60, v17
	v_add_f16_e32 v139, v145, v155
	;; [unrolled: 1-line block ×4, first 2 shown]
	v_sub_f16_e32 v19, v58, v19
	v_sub_f16_e32 v58, v147, v153
	v_add_f16_e32 v142, v23, v21
	v_sub_f16_e32 v21, v21, v23
	v_sub_f16_e32 v23, v151, v149
	v_fma_f16 v12, v12, v0, -v117
	v_fmac_f16_e32 v118, v122, v0
	v_fma_f16 v68, v68, v1, -v119
	v_fmac_f16_e32 v120, v116, v1
	;; [unrolled: 2-line block ×4, first 2 shown]
	v_sub_f16_e32 v17, v60, v17
	v_sub_f16_e32 v60, v145, v155
	v_add_f16_e32 v143, v149, v151
	v_fma_f16 v66, v66, v2, -v121
	v_fmac_f16_e32 v123, v112, v2
	v_fma_f16 v69, v69, v3, -v124
	v_fmac_f16_e32 v125, v115, v3
	v_add_f16_e32 v112, v133, v132
	v_add_f16_e32 v113, v136, v134
	v_sub_f16_e32 v114, v133, v132
	v_sub_f16_e32 v116, v132, v135
	;; [unrolled: 1-line block ×5, first 2 shown]
	v_add_f16_e32 v122, v20, v18
	v_add_f16_e32 v124, v22, v57
	v_sub_f16_e32 v126, v20, v18
	v_sub_f16_e32 v128, v22, v57
	;; [unrolled: 1-line block ×4, first 2 shown]
	v_add_f16_e32 v132, v140, v137
	v_add_f16_e32 v133, v141, v139
	v_sub_f16_e32 v146, v21, v19
	v_sub_f16_e32 v147, v23, v58
	v_add_f16_e32 v148, v12, v70
	v_add_f16_e32 v149, v118, v129
	v_sub_f16_e32 v12, v12, v70
	v_sub_f16_e32 v70, v118, v129
	;; [unrolled: 4-line block ×3, first 2 shown]
	v_sub_f16_e32 v22, v59, v22
	v_sub_f16_e32 v134, v140, v137
	;; [unrolled: 1-line block ×7, first 2 shown]
	v_add_f16_e32 v144, v21, v19
	v_add_f16_e32 v145, v23, v58
	v_sub_f16_e32 v19, v19, v17
	v_sub_f16_e32 v58, v58, v60
	;; [unrolled: 1-line block ×4, first 2 shown]
	v_add_f16_e32 v120, v66, v69
	v_add_f16_e32 v127, v123, v125
	v_sub_f16_e32 v66, v69, v66
	v_sub_f16_e32 v69, v125, v123
	v_add_f16_e32 v112, v135, v112
	v_add_f16_e32 v113, v138, v113
	;; [unrolled: 1-line block ×4, first 2 shown]
	v_mul_f16_e32 v116, 0x3a52, v116
	v_mul_f16_e32 v117, 0x3a52, v117
	v_mul_f16_e32 v122, 0x2b26, v119
	v_mul_f16_e32 v123, 0x2b26, v121
	v_mul_f16_e32 v124, 0xb846, v126
	v_mul_f16_e32 v125, 0xb846, v128
	v_mul_f16_e32 v126, 0x3b00, v18
	v_mul_f16_e32 v128, 0x3b00, v57
	v_add_f16_e32 v132, v142, v132
	v_add_f16_e32 v133, v143, v133
	v_mul_f16_e32 v142, 0xb846, v146
	v_mul_f16_e32 v143, 0xb846, v147
	v_add_f16_e32 v146, v118, v148
	v_add_f16_e32 v147, v129, v149
	v_sub_f16_e32 v21, v17, v21
	v_sub_f16_e32 v23, v60, v23
	v_add_f16_e32 v17, v144, v17
	v_add_f16_e32 v60, v145, v60
	v_mul_f16_e32 v135, 0x3a52, v137
	v_mul_f16_e32 v137, 0x3a52, v139
	;; [unrolled: 1-line block ×6, first 2 shown]
	v_sub_f16_e32 v150, v118, v148
	v_sub_f16_e32 v151, v129, v149
	;; [unrolled: 1-line block ×6, first 2 shown]
	v_add_f16_e32 v152, v66, v67
	v_add_f16_e32 v153, v69, v68
	v_sub_f16_e32 v154, v66, v67
	v_sub_f16_e32 v155, v69, v68
	;; [unrolled: 1-line block ×4, first 2 shown]
	v_add_f16_e32 v156, v14, v112
	v_add_f16_sdwa v14, v14, v113 dst_sel:DWORD dst_unused:UNUSED_PAD src0_sel:WORD_1 src1_sel:DWORD
	v_fmamk_f16 v119, v119, 0x2b26, v116
	v_fmamk_f16 v121, v121, 0x2b26, v117
	v_fma_f16 v122, v114, 0x39e0, -v122
	v_fma_f16 v123, v115, 0x39e0, -v123
	;; [unrolled: 1-line block ×4, first 2 shown]
	v_fmamk_f16 v116, v20, 0x3574, v124
	v_fmamk_f16 v117, v22, 0x3574, v125
	v_fma_f16 v18, v18, 0x3b00, -v124
	v_fma_f16 v57, v57, 0x3b00, -v125
	;; [unrolled: 1-line block ×4, first 2 shown]
	v_add_f16_e32 v124, v15, v132
	v_add_f16_sdwa v15, v15, v133 dst_sel:DWORD dst_unused:UNUSED_PAD src0_sel:WORD_1 src1_sel:DWORD
	v_add_f16_e32 v120, v120, v146
	v_add_f16_e32 v127, v127, v147
	v_sub_f16_e32 v66, v12, v66
	v_sub_f16_e32 v69, v70, v69
	v_fmamk_f16 v125, v140, 0x2b26, v135
	v_fmamk_f16 v126, v141, 0x2b26, v137
	v_fma_f16 v128, v134, 0x39e0, -v138
	v_fma_f16 v138, v136, 0x39e0, -v139
	;; [unrolled: 1-line block ×4, first 2 shown]
	v_fmamk_f16 v136, v21, 0x3574, v142
	v_fmamk_f16 v137, v23, 0x3574, v143
	v_fma_f16 v19, v19, 0x3b00, -v142
	v_fma_f16 v58, v58, 0x3b00, -v143
	;; [unrolled: 1-line block ×4, first 2 shown]
	v_add_f16_e32 v139, v152, v12
	v_mul_f16_e32 v140, 0x3a52, v148
	v_mul_f16_e32 v141, 0x3a52, v149
	;; [unrolled: 1-line block ×8, first 2 shown]
	v_fmamk_f16 v112, v112, 0xbcab, v156
	v_fmamk_f16 v113, v113, 0xbcab, v14
	v_fmac_f16_e32 v116, 0x370e, v16
	v_fmac_f16_e32 v117, 0x370e, v59
	;; [unrolled: 1-line block ×6, first 2 shown]
	v_fmamk_f16 v16, v132, 0xbcab, v124
	v_fmamk_f16 v59, v133, 0xbcab, v15
	v_add_f16_e32 v12, v13, v120
	v_add_f16_e32 v13, v65, v127
	;; [unrolled: 1-line block ×3, first 2 shown]
	v_fmac_f16_e32 v136, 0x370e, v17
	v_fmac_f16_e32 v137, 0x370e, v60
	;; [unrolled: 1-line block ×6, first 2 shown]
	v_pack_b32_f16 v15, v124, v15
	v_fmamk_f16 v17, v118, 0x2b26, v140
	v_fmamk_f16 v60, v129, 0x2b26, v141
	v_fma_f16 v65, v150, 0x39e0, -v142
	v_fma_f16 v118, v151, 0x39e0, -v143
	;; [unrolled: 1-line block ×4, first 2 shown]
	v_fmamk_f16 v132, v66, 0x3574, v144
	v_fmamk_f16 v133, v69, 0x3574, v145
	v_fma_f16 v67, v67, 0x3b00, -v144
	v_fma_f16 v68, v68, 0x3b00, -v145
	;; [unrolled: 1-line block ×4, first 2 shown]
	v_add_f16_e32 v119, v119, v112
	v_add_f16_e32 v121, v121, v113
	;; [unrolled: 1-line block ×12, first 2 shown]
	v_fmamk_f16 v120, v120, 0xbcab, v12
	v_fmamk_f16 v127, v127, 0xbcab, v13
	v_fmac_f16_e32 v132, 0x370e, v139
	v_fmac_f16_e32 v133, 0x370e, v70
	v_fmac_f16_e32 v67, 0x370e, v139
	v_fmac_f16_e32 v68, 0x370e, v70
	v_fmac_f16_e32 v66, 0x370e, v139
	v_fmac_f16_e32 v69, 0x370e, v70
	v_add_f16_e32 v70, v117, v119
	v_sub_f16_e32 v128, v121, v116
	v_add_f16_e32 v134, v22, v112
	v_sub_f16_e32 v135, v113, v20
	v_sub_f16_e32 v138, v122, v57
	v_add_f16_e32 v139, v18, v123
	v_add_f16_e32 v57, v57, v122
	v_sub_f16_e32 v18, v123, v18
	v_sub_f16_e32 v22, v112, v22
	v_add_f16_e32 v20, v20, v113
	v_sub_f16_e32 v112, v119, v117
	v_add_f16_e32 v113, v116, v121
	v_add_f16_e32 v116, v137, v114
	v_sub_f16_e32 v117, v115, v136
	v_add_f16_e32 v119, v23, v16
	v_sub_f16_e32 v121, v59, v21
	v_sub_f16_e32 v122, v125, v58
	v_add_f16_e32 v123, v19, v126
	v_add_f16_e32 v17, v17, v120
	;; [unrolled: 1-line block ×7, first 2 shown]
	v_pack_b32_f16 v14, v156, v14
	v_add_f16_e32 v58, v58, v125
	v_sub_f16_e32 v19, v126, v19
	v_sub_f16_e32 v16, v16, v23
	v_add_f16_e32 v21, v21, v59
	v_sub_f16_e32 v23, v114, v137
	v_add_f16_e32 v59, v136, v115
	v_pack_b32_f16 v70, v70, v128
	v_pack_b32_f16 v18, v57, v18
	;; [unrolled: 1-line block ×7, first 2 shown]
	v_add_f16_e32 v122, v133, v17
	v_sub_f16_e32 v123, v60, v132
	v_add_f16_e32 v112, v69, v120
	v_sub_f16_e32 v116, v124, v66
	v_sub_f16_e32 v113, v65, v68
	v_add_f16_e32 v115, v67, v118
	v_add_f16_e32 v114, v68, v65
	v_sub_f16_e32 v117, v118, v67
	v_sub_f16_e32 v118, v120, v69
	v_add_f16_e32 v119, v66, v124
	v_sub_f16_e32 v120, v17, v133
	v_add_f16_e32 v121, v132, v60
	v_pack_b32_f16 v125, v134, v135
	v_pack_b32_f16 v126, v138, v139
	;; [unrolled: 1-line block ×5, first 2 shown]
	ds_write2_b32 v111, v14, v70 offset1:54
	ds_write2_b32 v111, v125, v126 offset0:108 offset1:162
	ds_write2_b32 v130, v18, v20 offset0:88 offset1:142
	ds_write_b32 v111, v22 offset:1296
	ds_write2_b32 v110, v15, v57 offset1:54
	ds_write2_b32 v110, v127, v128 offset0:108 offset1:162
	ds_write2_b32 v131, v19, v16 offset0:88 offset1:142
	ds_write_b32 v110, v21 offset:1296
	s_and_saveexec_b32 s1, s0
	s_cbranch_execz .LBB0_11
; %bb.10:
	v_mov_b32_e32 v14, 2
	v_perm_b32 v12, v13, v12, 0x5040100
	v_perm_b32 v15, v116, v112, 0x5040100
	;; [unrolled: 1-line block ×4, first 2 shown]
	v_lshlrev_b32_sdwa v13, v14, v99 dst_sel:DWORD dst_unused:UNUSED_PAD src0_sel:DWORD src1_sel:WORD_0
	v_perm_b32 v14, v123, v122, 0x5040100
	v_perm_b32 v20, v119, v118, 0x5040100
	;; [unrolled: 1-line block ×3, first 2 shown]
	v_add_nc_u32_e32 v18, 0x1600, v13
	v_add_nc_u32_e32 v19, 0x1800, v13
	ds_write2_b32 v18, v12, v14 offset0:104 offset1:158
	ds_write2_b32 v19, v15, v16 offset0:84 offset1:138
	;; [unrolled: 1-line block ×3, first 2 shown]
	ds_write_b32 v13, v21 offset:7344
.LBB0_11:
	s_or_b32 exec_lo, exec_lo, s1
	v_lshlrev_b32_e32 v12, 4, v84
	s_waitcnt lgkmcnt(0)
	s_barrier
	buffer_gl0_inv
	v_add_nc_u32_e32 v59, 0x200, v71
	global_load_dwordx4 v[20:23], v12, s[2:3] offset:1504
	v_lshlrev_b32_e32 v12, 4, v64
	v_add_nc_u32_e32 v68, 0xa00, v71
	v_add_nc_u32_e32 v64, 0xe00, v71
	ds_read2_b32 v[57:58], v71 offset1:126
	v_add_nc_u32_e32 v60, 0x600, v71
	global_load_dwordx4 v[16:19], v12, s[2:3] offset:1504
	v_lshlrev_b32_e32 v12, 4, v63
	v_add_nc_u32_e32 v63, 0x1600, v71
	v_add_nc_u32_e32 v65, 0x1200, v71
	global_load_dwordx4 v[12:15], v12, s[2:3] offset:1504
	ds_read_b32 v70, v71 offset:7056
	ds_read2_b32 v[66:67], v59 offset0:124 offset1:250
	ds_read2_b32 v[68:69], v68 offset0:116 offset1:242
	;; [unrolled: 1-line block ×6, first 2 shown]
	s_waitcnt lgkmcnt(7)
	v_lshrrev_b32_e32 v132, 16, v57
	v_lshrrev_b32_e32 v133, 16, v58
	s_waitcnt lgkmcnt(6)
	v_lshrrev_b32_e32 v134, 16, v70
	s_waitcnt lgkmcnt(5)
	;; [unrolled: 2-line block ×6, first 2 shown]
	v_lshrrev_b32_e32 v139, 16, v128
	v_lshrrev_b32_e32 v140, 16, v69
	s_waitcnt lgkmcnt(0)
	v_lshrrev_b32_e32 v141, 16, v130
	v_lshrrev_b32_e32 v142, 16, v127
	;; [unrolled: 1-line block ×6, first 2 shown]
	s_waitcnt vmcnt(2)
	v_mul_f16_sdwa v147, v135, v20 dst_sel:DWORD dst_unused:UNUSED_PAD src0_sel:DWORD src1_sel:WORD_1
	v_mul_f16_sdwa v148, v67, v20 dst_sel:DWORD dst_unused:UNUSED_PAD src0_sel:DWORD src1_sel:WORD_1
	v_mul_f16_sdwa v149, v136, v21 dst_sel:DWORD dst_unused:UNUSED_PAD src0_sel:DWORD src1_sel:WORD_1
	v_mul_f16_sdwa v150, v68, v21 dst_sel:DWORD dst_unused:UNUSED_PAD src0_sel:DWORD src1_sel:WORD_1
	v_mul_f16_sdwa v151, v137, v22 dst_sel:DWORD dst_unused:UNUSED_PAD src0_sel:DWORD src1_sel:WORD_1
	v_mul_f16_sdwa v152, v125, v22 dst_sel:DWORD dst_unused:UNUSED_PAD src0_sel:DWORD src1_sel:WORD_1
	v_mul_f16_sdwa v153, v138, v23 dst_sel:DWORD dst_unused:UNUSED_PAD src0_sel:DWORD src1_sel:WORD_1
	v_mul_f16_sdwa v154, v126, v23 dst_sel:DWORD dst_unused:UNUSED_PAD src0_sel:DWORD src1_sel:WORD_1
	s_waitcnt vmcnt(1)
	v_mul_f16_sdwa v155, v139, v16 dst_sel:DWORD dst_unused:UNUSED_PAD src0_sel:DWORD src1_sel:WORD_1
	v_mul_f16_sdwa v156, v128, v16 dst_sel:DWORD dst_unused:UNUSED_PAD src0_sel:DWORD src1_sel:WORD_1
	v_mul_f16_sdwa v157, v140, v17 dst_sel:DWORD dst_unused:UNUSED_PAD src0_sel:DWORD src1_sel:WORD_1
	v_mul_f16_sdwa v158, v69, v17 dst_sel:DWORD dst_unused:UNUSED_PAD src0_sel:DWORD src1_sel:WORD_1
	v_mul_f16_sdwa v159, v141, v18 dst_sel:DWORD dst_unused:UNUSED_PAD src0_sel:DWORD src1_sel:WORD_1
	v_mul_f16_sdwa v160, v130, v18 dst_sel:DWORD dst_unused:UNUSED_PAD src0_sel:DWORD src1_sel:WORD_1
	v_mul_f16_sdwa v161, v142, v19 dst_sel:DWORD dst_unused:UNUSED_PAD src0_sel:DWORD src1_sel:WORD_1
	v_mul_f16_sdwa v162, v127, v19 dst_sel:DWORD dst_unused:UNUSED_PAD src0_sel:DWORD src1_sel:WORD_1
	;; [unrolled: 9-line block ×3, first 2 shown]
	v_fma_f16 v67, v67, v20, -v147
	v_fmac_f16_e32 v148, v135, v20
	v_fma_f16 v68, v68, v21, -v149
	v_fmac_f16_e32 v150, v136, v21
	;; [unrolled: 2-line block ×12, first 2 shown]
	v_add_f16_e32 v131, v57, v67
	v_add_f16_e32 v134, v68, v135
	v_sub_f16_e32 v138, v67, v68
	v_sub_f16_e32 v139, v126, v135
	v_add_f16_e32 v140, v67, v126
	v_add_f16_e32 v144, v132, v148
	;; [unrolled: 1-line block ×4, first 2 shown]
	v_sub_f16_e32 v136, v148, v154
	v_sub_f16_e32 v141, v68, v67
	;; [unrolled: 1-line block ×9, first 2 shown]
	v_add_f16_e32 v155, v58, v125
	v_add_f16_e32 v157, v69, v128
	v_sub_f16_e32 v163, v125, v69
	v_add_f16_e32 v167, v125, v127
	v_sub_f16_e32 v169, v69, v125
	v_add_f16_e32 v172, v133, v156
	v_add_f16_e32 v173, v158, v160
	v_sub_f16_e32 v174, v125, v127
	v_sub_f16_e32 v125, v156, v158
	;; [unrolled: 1-line block ×3, first 2 shown]
	v_add_f16_e32 v177, v156, v162
	v_add_f16_e32 v179, v66, v129
	;; [unrolled: 1-line block ×8, first 2 shown]
	v_fma_f16 v131, -0.5, v134, v57
	v_add_f16_e32 v134, v138, v139
	v_fma_f16 v57, -0.5, v140, v57
	v_add_f16_e32 v139, v144, v150
	v_fma_f16 v140, -0.5, v145, v132
	v_sub_f16_e32 v137, v150, v152
	v_sub_f16_e32 v165, v127, v128
	;; [unrolled: 1-line block ×6, first 2 shown]
	v_fmac_f16_e32 v132, -0.5, v151
	v_sub_f16_e32 v159, v156, v162
	v_sub_f16_e32 v161, v158, v160
	;; [unrolled: 1-line block ×9, first 2 shown]
	v_add_f16_e32 v138, v141, v142
	v_add_f16_e32 v141, v147, v149
	;; [unrolled: 1-line block ×4, first 2 shown]
	v_fma_f16 v144, -0.5, v157, v58
	v_fmac_f16_e32 v58, -0.5, v167
	v_add_f16_e32 v148, v172, v158
	v_fma_f16 v149, -0.5, v173, v133
	v_add_f16_e32 v150, v125, v176
	v_fmac_f16_e32 v133, -0.5, v177
	v_add_f16_e32 v153, v179, v124
	v_fma_f16 v124, -0.5, v180, v66
	v_fmac_f16_e32 v66, -0.5, v185
	v_add_f16_e32 v157, v188, v166
	v_fma_f16 v125, -0.5, v189, v143
	v_fmac_f16_e32 v143, -0.5, v193
	v_add_f16_e32 v68, v68, v135
	v_fmamk_f16 v135, v136, 0x3b9c, v131
	v_add_f16_e32 v139, v139, v152
	v_fmamk_f16 v152, v67, 0xbb9c, v140
	v_add_f16_e32 v145, v163, v165
	v_add_f16_e32 v163, v164, v194
	v_fmamk_f16 v164, v137, 0xbb9c, v57
	v_fmamk_f16 v165, v146, 0x3b9c, v132
	v_fmac_f16_e32 v57, 0x3b9c, v137
	v_fmac_f16_e32 v132, 0xbb9c, v146
	;; [unrolled: 1-line block ×4, first 2 shown]
	v_sub_f16_e32 v156, v158, v156
	v_sub_f16_e32 v178, v160, v162
	;; [unrolled: 1-line block ×5, first 2 shown]
	v_add_f16_e32 v147, v169, v171
	v_add_f16_e32 v69, v69, v128
	v_fmamk_f16 v128, v159, 0x3b9c, v144
	v_fmac_f16_e32 v144, 0xbb9c, v159
	v_fmamk_f16 v166, v161, 0xbb9c, v58
	v_fmac_f16_e32 v58, 0x3b9c, v161
	v_add_f16_e32 v148, v148, v160
	v_fmamk_f16 v160, v174, 0xbb9c, v149
	v_fmac_f16_e32 v149, 0x3b9c, v174
	v_fmamk_f16 v167, v175, 0x3b9c, v133
	v_fmac_f16_e32 v133, 0xbb9c, v175
	;; [unrolled: 5-line block ×4, first 2 shown]
	v_fmac_f16_e32 v135, 0x38b4, v137
	v_fmac_f16_e32 v152, 0xb8b4, v146
	;; [unrolled: 1-line block ×8, first 2 shown]
	v_add_f16_e32 v151, v156, v178
	v_add_f16_e32 v155, v183, v184
	;; [unrolled: 1-line block ×5, first 2 shown]
	v_fmac_f16_e32 v128, 0x38b4, v161
	v_fmac_f16_e32 v144, 0xb8b4, v161
	v_fmac_f16_e32 v166, 0x38b4, v159
	v_fmac_f16_e32 v58, 0xb8b4, v159
	v_add_f16_e32 v69, v148, v162
	v_fmac_f16_e32 v160, 0xb8b4, v175
	v_fmac_f16_e32 v149, 0x38b4, v175
	v_fmac_f16_e32 v167, 0xb8b4, v174
	v_fmac_f16_e32 v133, 0x38b4, v174
	v_add_f16_e32 v70, v130, v70
	;; [unrolled: 5-line block ×3, first 2 shown]
	v_fmac_f16_e32 v168, 0xb8b4, v190
	v_fmac_f16_e32 v125, 0x38b4, v190
	;; [unrolled: 1-line block ×6, first 2 shown]
	v_add_f16_e32 v68, v68, v126
	v_add_f16_e32 v126, v139, v154
	v_fmac_f16_e32 v164, 0x34f2, v138
	v_fmac_f16_e32 v165, 0x34f2, v142
	;; [unrolled: 1-line block ×22, first 2 shown]
	v_pack_b32_f16 v67, v67, v69
	v_pack_b32_f16 v69, v70, v127
	;; [unrolled: 1-line block ×15, first 2 shown]
	ds_write_b32 v71, v70 offset:1512
	ds_write_b32 v71, v126 offset:3024
	;; [unrolled: 1-line block ×4, first 2 shown]
	ds_write2_b32 v71, v68, v67 offset1:126
	ds_write_b32 v71, v129 offset:3528
	ds_write_b32 v71, v58 offset:5040
	;; [unrolled: 1-line block ×4, first 2 shown]
	ds_write2_b32 v60, v128, v131 offset0:120 offset1:246
	ds_write_b32 v71, v132 offset:4032
	ds_write_b32 v71, v66 offset:5544
	;; [unrolled: 1-line block ×3, first 2 shown]
	s_waitcnt lgkmcnt(0)
	s_barrier
	buffer_gl0_inv
	global_load_dword v70, v[26:27], off offset:1416
	v_add_co_u32 v57, s1, 0x1d88, v62
	v_add_co_ci_u32_e64 v58, s1, 0, v61, s1
	v_add_co_u32 v66, s1, 0x2800, v62
	v_add_co_ci_u32_e64 v67, s1, 0, v61, s1
	global_load_dword v136, v[57:58], off offset:504
	v_add_co_u32 v68, s1, 0x3000, v62
	global_load_dword v138, v[66:67], off offset:1100
	v_add_co_ci_u32_e64 v69, s1, 0, v61, s1
	v_add_co_u32 v126, s1, 0x2000, v62
	v_add_co_ci_u32_e64 v127, s1, 0, v61, s1
	v_add_co_u32 v128, s1, 0x3800, v62
	s_clause 0x3
	global_load_dword v139, v[66:67], off offset:1604
	global_load_dword v140, v[57:58], off offset:1008
	;; [unrolled: 1-line block ×4, first 2 shown]
	v_add_co_ci_u32_e64 v129, s1, 0, v61, s1
	s_clause 0x6
	global_load_dword v143, v[68:69], off offset:564
	global_load_dword v144, v[57:58], off offset:2016
	;; [unrolled: 1-line block ×7, first 2 shown]
	ds_read2_b32 v[67:68], v71 offset1:126
	v_add_nc_u32_e32 v150, 0x800, v71
	s_waitcnt lgkmcnt(0)
	v_lshrrev_b32_e32 v61, 16, v67
	s_waitcnt vmcnt(13)
	v_mul_f16_sdwa v62, v61, v70 dst_sel:DWORD dst_unused:UNUSED_PAD src0_sel:DWORD src1_sel:WORD_1
	v_mul_f16_sdwa v69, v67, v70 dst_sel:DWORD dst_unused:UNUSED_PAD src0_sel:DWORD src1_sel:WORD_1
	v_fma_f16 v62, v67, v70, -v62
	v_fmac_f16_e32 v69, v61, v70
	v_lshrrev_b32_e32 v70, 16, v68
	v_add_nc_u32_e32 v61, 0xb00, v71
	s_waitcnt vmcnt(12)
	v_mul_f16_sdwa v149, v68, v136 dst_sel:DWORD dst_unused:UNUSED_PAD src0_sel:DWORD src1_sel:WORD_1
	v_pack_b32_f16 v67, v62, v69
	v_add_nc_u32_e32 v62, 0x1000, v71
	v_mul_f16_sdwa v137, v70, v136 dst_sel:DWORD dst_unused:UNUSED_PAD src0_sel:DWORD src1_sel:WORD_1
	v_add_nc_u32_e32 v69, 0x1800, v71
	v_fmac_f16_e32 v149, v70, v136
	ds_write_b32 v71, v67
	v_add_nc_u32_e32 v67, 0x1400, v71
	ds_read2_b32 v[126:127], v61 offset0:52 offset1:241
	ds_read2_b32 v[128:129], v62 offset0:47 offset1:173
	;; [unrolled: 1-line block ×4, first 2 shown]
	v_fma_f16 v68, v68, v136, -v137
	ds_read2_b32 v[132:133], v67 offset0:43 offset1:169
	ds_read2_b32 v[136:137], v69 offset0:39 offset1:165
	v_add_nc_u32_e32 v70, 0x400, v71
	v_pack_b32_f16 v68, v68, v149
	s_waitcnt lgkmcnt(5)
	v_lshrrev_b32_e32 v149, 16, v127
	s_waitcnt vmcnt(11)
	v_mul_f16_sdwa v151, v127, v138 dst_sel:DWORD dst_unused:UNUSED_PAD src0_sel:DWORD src1_sel:WORD_1
	s_waitcnt lgkmcnt(4)
	v_lshrrev_b32_e32 v152, 16, v128
	s_waitcnt vmcnt(10)
	v_mul_f16_sdwa v153, v128, v139 dst_sel:DWORD dst_unused:UNUSED_PAD src0_sel:DWORD src1_sel:WORD_1
	;; [unrolled: 4-line block ×3, first 2 shown]
	v_lshrrev_b32_e32 v156, 16, v129
	s_waitcnt vmcnt(8)
	v_mul_f16_sdwa v157, v129, v141 dst_sel:DWORD dst_unused:UNUSED_PAD src0_sel:DWORD src1_sel:WORD_1
	v_lshrrev_b32_e32 v158, 16, v131
	s_waitcnt vmcnt(7)
	v_mul_f16_sdwa v159, v131, v142 dst_sel:DWORD dst_unused:UNUSED_PAD src0_sel:DWORD src1_sel:WORD_1
	s_waitcnt lgkmcnt(1)
	v_lshrrev_b32_e32 v160, 16, v132
	s_waitcnt vmcnt(6)
	v_mul_f16_sdwa v161, v132, v143 dst_sel:DWORD dst_unused:UNUSED_PAD src0_sel:DWORD src1_sel:WORD_1
	v_lshrrev_b32_e32 v162, 16, v134
	s_waitcnt vmcnt(5)
	v_mul_f16_sdwa v163, v134, v144 dst_sel:DWORD dst_unused:UNUSED_PAD src0_sel:DWORD src1_sel:WORD_1
	v_lshrrev_b32_e32 v164, 16, v133
	s_waitcnt vmcnt(4)
	v_mul_f16_sdwa v165, v133, v145 dst_sel:DWORD dst_unused:UNUSED_PAD src0_sel:DWORD src1_sel:WORD_1
	v_lshrrev_b32_e32 v166, 16, v135
	s_waitcnt vmcnt(3)
	v_mul_f16_sdwa v167, v135, v146 dst_sel:DWORD dst_unused:UNUSED_PAD src0_sel:DWORD src1_sel:WORD_1
	s_waitcnt lgkmcnt(0)
	v_lshrrev_b32_e32 v168, 16, v136
	s_waitcnt vmcnt(2)
	v_mul_f16_sdwa v169, v136, v147 dst_sel:DWORD dst_unused:UNUSED_PAD src0_sel:DWORD src1_sel:WORD_1
	v_lshrrev_b32_e32 v170, 16, v126
	s_waitcnt vmcnt(1)
	v_mul_f16_sdwa v171, v126, v66 dst_sel:DWORD dst_unused:UNUSED_PAD src0_sel:DWORD src1_sel:WORD_1
	v_lshrrev_b32_e32 v172, 16, v137
	v_mul_f16_sdwa v174, v149, v138 dst_sel:DWORD dst_unused:UNUSED_PAD src0_sel:DWORD src1_sel:WORD_1
	v_fmac_f16_e32 v151, v149, v138
	v_mul_f16_sdwa v149, v152, v139 dst_sel:DWORD dst_unused:UNUSED_PAD src0_sel:DWORD src1_sel:WORD_1
	v_fmac_f16_e32 v153, v152, v139
	;; [unrolled: 2-line block ×9, first 2 shown]
	v_mul_f16_sdwa v166, v168, v147 dst_sel:DWORD dst_unused:UNUSED_PAD src0_sel:DWORD src1_sel:WORD_1
	s_waitcnt vmcnt(0)
	v_mul_f16_sdwa v173, v137, v148 dst_sel:DWORD dst_unused:UNUSED_PAD src0_sel:DWORD src1_sel:WORD_1
	v_fmac_f16_e32 v169, v168, v147
	v_mul_f16_sdwa v168, v170, v66 dst_sel:DWORD dst_unused:UNUSED_PAD src0_sel:DWORD src1_sel:WORD_1
	v_fmac_f16_e32 v171, v170, v66
	v_mul_f16_sdwa v170, v172, v148 dst_sel:DWORD dst_unused:UNUSED_PAD src0_sel:DWORD src1_sel:WORD_1
	v_fma_f16 v127, v127, v138, -v174
	v_fma_f16 v128, v128, v139, -v149
	;; [unrolled: 1-line block ×9, first 2 shown]
	v_fmac_f16_e32 v173, v172, v148
	v_fma_f16 v135, v135, v146, -v164
	v_fma_f16 v66, v126, v66, -v168
	;; [unrolled: 1-line block ×3, first 2 shown]
	v_pack_b32_f16 v127, v127, v151
	v_pack_b32_f16 v128, v128, v153
	;; [unrolled: 1-line block ×12, first 2 shown]
	ds_write2_b32 v64, v127, v128 offset0:49 offset1:175
	ds_write2_b32 v71, v68, v130 offset0:126 offset1:252
	;; [unrolled: 1-line block ×6, first 2 shown]
	ds_write_b32 v71, v126 offset:6804
	s_and_saveexec_b32 s2, vcc_lo
	s_cbranch_execz .LBB0_13
; %bb.12:
	v_add_co_u32 v63, s1, 0x800, v57
	v_add_co_ci_u32_e64 v64, s1, 0, v58, s1
	v_add_co_u32 v57, s1, 0x1800, v57
	v_add_co_ci_u32_e64 v58, s1, 0, v58, s1
	s_clause 0x1
	global_load_dword v63, v[63:64], off offset:1480
	global_load_dword v57, v[57:58], off offset:1164
	ds_read_b32 v58, v71 offset:3528
	ds_read_b32 v64, v71 offset:7308
	s_waitcnt lgkmcnt(1)
	v_lshrrev_b32_e32 v65, 16, v58
	s_waitcnt lgkmcnt(0)
	v_lshrrev_b32_e32 v66, 16, v64
	s_waitcnt vmcnt(1)
	v_mul_f16_sdwa v68, v65, v63 dst_sel:DWORD dst_unused:UNUSED_PAD src0_sel:DWORD src1_sel:WORD_1
	v_mul_f16_sdwa v70, v58, v63 dst_sel:DWORD dst_unused:UNUSED_PAD src0_sel:DWORD src1_sel:WORD_1
	s_waitcnt vmcnt(0)
	v_mul_f16_sdwa v126, v66, v57 dst_sel:DWORD dst_unused:UNUSED_PAD src0_sel:DWORD src1_sel:WORD_1
	v_mul_f16_sdwa v127, v64, v57 dst_sel:DWORD dst_unused:UNUSED_PAD src0_sel:DWORD src1_sel:WORD_1
	v_fma_f16 v58, v58, v63, -v68
	v_fmac_f16_e32 v70, v65, v63
	v_fma_f16 v63, v64, v57, -v126
	v_fmac_f16_e32 v127, v66, v57
	v_pack_b32_f16 v57, v58, v70
	v_pack_b32_f16 v58, v63, v127
	ds_write_b32 v71, v57 offset:3528
	ds_write_b32 v71, v58 offset:7308
.LBB0_13:
	s_or_b32 exec_lo, exec_lo, s2
	s_waitcnt lgkmcnt(0)
	s_barrier
	buffer_gl0_inv
	ds_read2_b32 v[63:64], v71 offset1:126
	ds_read2_b32 v[57:58], v61 offset0:52 offset1:241
	ds_read2_b32 v[65:66], v62 offset0:47 offset1:173
	;; [unrolled: 1-line block ×6, first 2 shown]
	v_add_nc_u32_e32 v126, 0x13b0, v93
	v_add_nc_u32_e32 v93, 0x17a0, v93
	s_and_saveexec_b32 s1, vcc_lo
	s_cbranch_execz .LBB0_15
; %bb.14:
	ds_read_b32 v124, v71 offset:3528
	ds_read_b32 v122, v71 offset:7308
	s_waitcnt lgkmcnt(1)
	v_lshrrev_b32_e32 v125, 16, v124
	s_waitcnt lgkmcnt(0)
	v_lshrrev_b32_e32 v123, 16, v122
.LBB0_15:
	s_or_b32 exec_lo, exec_lo, s1
	s_waitcnt lgkmcnt(5)
	v_pk_add_f16 v128, v63, v58 neg_lo:[0,1] neg_hi:[0,1]
	s_waitcnt lgkmcnt(4)
	v_pk_add_f16 v130, v64, v65 neg_lo:[0,1] neg_hi:[0,1]
	s_waitcnt lgkmcnt(3)
	v_pk_add_f16 v131, v61, v66 neg_lo:[0,1] neg_hi:[0,1]
	s_waitcnt lgkmcnt(2)
	v_pk_add_f16 v67, v62, v67 neg_lo:[0,1] neg_hi:[0,1]
	s_waitcnt lgkmcnt(1)
	v_pk_add_f16 v133, v59, v68 neg_lo:[0,1] neg_hi:[0,1]
	v_pk_fma_f16 v127, v63, 2.0, v128 op_sel_hi:[1,0,1] neg_lo:[0,0,1] neg_hi:[0,0,1]
	v_pk_fma_f16 v129, v64, 2.0, v130 op_sel_hi:[1,0,1] neg_lo:[0,0,1] neg_hi:[0,0,1]
	s_waitcnt lgkmcnt(0)
	v_pk_add_f16 v69, v60, v69 neg_lo:[0,1] neg_hi:[0,1]
	v_pk_add_f16 v135, v57, v70 neg_lo:[0,1] neg_hi:[0,1]
	v_sub_f16_e32 v58, v124, v122
	v_sub_f16_e32 v65, v125, v123
	s_barrier
	buffer_gl0_inv
	ds_write_b64 v90, v[127:128]
	ds_write_b64 v92, v[129:130]
	v_pk_fma_f16 v130, v61, 2.0, v131 op_sel_hi:[1,0,1] neg_lo:[0,0,1] neg_hi:[0,0,1]
	v_pk_fma_f16 v66, v62, 2.0, v67 op_sel_hi:[1,0,1] neg_lo:[0,0,1] neg_hi:[0,0,1]
	v_pk_fma_f16 v132, v59, 2.0, v133 op_sel_hi:[1,0,1] neg_lo:[0,0,1] neg_hi:[0,0,1]
	v_pk_fma_f16 v68, v60, 2.0, v69 op_sel_hi:[1,0,1] neg_lo:[0,0,1] neg_hi:[0,0,1]
	v_pk_fma_f16 v134, v57, 2.0, v135 op_sel_hi:[1,0,1] neg_lo:[0,0,1] neg_hi:[0,0,1]
	ds_write_b64 v87, v[130:131]
	ds_write_b64 v88, v[66:67]
	;; [unrolled: 1-line block ×5, first 2 shown]
	s_and_saveexec_b32 s1, vcc_lo
	s_cbranch_execz .LBB0_17
; %bb.16:
	v_fma_f16 v57, v124, 2.0, -v58
	v_fma_f16 v59, v125, 2.0, -v65
	v_perm_b32 v60, v65, v58, 0x5040100
	v_pack_b32_f16 v59, v57, v59
	ds_write_b64 v89, v[59:60]
.LBB0_17:
	s_or_b32 exec_lo, exec_lo, s1
	v_add_nc_u32_e32 v57, 0x600, v71
	s_waitcnt lgkmcnt(0)
	s_barrier
	buffer_gl0_inv
	v_add_nc_u32_e32 v60, 0xa00, v71
	ds_read2_b32 v[68:69], v57 offset0:120 offset1:246
	v_add_nc_u32_e32 v59, 0x1200, v71
	ds_read2_b32 v[66:67], v71 offset1:126
	ds_read_b32 v64, v71 offset:7056
	ds_read2_b32 v[87:88], v59 offset0:108 offset1:234
	ds_read2_b32 v[89:90], v60 offset0:116 offset1:242
	v_add_nc_u32_e32 v61, 0x200, v71
	v_add_nc_u32_e32 v63, 0x1600, v71
	;; [unrolled: 1-line block ×3, first 2 shown]
	ds_read2_b32 v[91:92], v61 offset0:124 offset1:250
	ds_read2_b32 v[122:123], v63 offset0:104 offset1:230
	;; [unrolled: 1-line block ×3, first 2 shown]
	s_waitcnt lgkmcnt(0)
	s_barrier
	buffer_gl0_inv
	v_lshrrev_b32_e32 v127, 16, v69
	v_mul_f16_sdwa v139, v29, v69 dst_sel:DWORD dst_unused:UNUSED_PAD src0_sel:WORD_1 src1_sel:DWORD
	v_lshrrev_b32_e32 v70, 16, v66
	v_lshrrev_b32_e32 v93, 16, v67
	;; [unrolled: 1-line block ×5, first 2 shown]
	v_mul_f16_sdwa v137, v29, v127 dst_sel:DWORD dst_unused:UNUSED_PAD src0_sel:WORD_1 src1_sel:DWORD
	v_lshrrev_b32_e32 v130, 16, v88
	v_fma_f16 v127, v29, v127, -v139
	v_mul_f16_sdwa v141, v30, v128 dst_sel:DWORD dst_unused:UNUSED_PAD src0_sel:WORD_1 src1_sel:DWORD
	v_mul_f16_sdwa v139, v29, v129 dst_sel:DWORD dst_unused:UNUSED_PAD src0_sel:WORD_1 src1_sel:DWORD
	v_fmac_f16_e32 v137, v29, v69
	v_mul_f16_sdwa v69, v30, v87 dst_sel:DWORD dst_unused:UNUSED_PAD src0_sel:WORD_1 src1_sel:DWORD
	v_lshrrev_b32_e32 v132, 16, v90
	v_lshrrev_b32_e32 v133, 16, v122
	v_fmac_f16_e32 v141, v30, v87
	v_mul_f16_sdwa v87, v29, v89 dst_sel:DWORD dst_unused:UNUSED_PAD src0_sel:WORD_1 src1_sel:DWORD
	v_fma_f16 v69, v30, v128, -v69
	v_mul_f16_sdwa v128, v30, v130 dst_sel:DWORD dst_unused:UNUSED_PAD src0_sel:WORD_1 src1_sel:DWORD
	v_fmac_f16_e32 v139, v29, v89
	v_mul_f16_sdwa v89, v30, v88 dst_sel:DWORD dst_unused:UNUSED_PAD src0_sel:WORD_1 src1_sel:DWORD
	v_lshrrev_b32_e32 v135, 16, v124
	v_fma_f16 v87, v29, v129, -v87
	v_mul_f16_sdwa v129, v29, v132 dst_sel:DWORD dst_unused:UNUSED_PAD src0_sel:WORD_1 src1_sel:DWORD
	v_fmac_f16_e32 v128, v30, v88
	v_mul_f16_sdwa v88, v29, v90 dst_sel:DWORD dst_unused:UNUSED_PAD src0_sel:WORD_1 src1_sel:DWORD
	v_fma_f16 v89, v30, v130, -v89
	v_mul_f16_sdwa v130, v30, v133 dst_sel:DWORD dst_unused:UNUSED_PAD src0_sel:WORD_1 src1_sel:DWORD
	v_lshrrev_b32_e32 v136, 16, v123
	v_lshrrev_b32_e32 v140, 16, v125
	v_fmac_f16_e32 v129, v29, v90
	v_mul_f16_sdwa v90, v30, v122 dst_sel:DWORD dst_unused:UNUSED_PAD src0_sel:WORD_1 src1_sel:DWORD
	v_fma_f16 v88, v29, v132, -v88
	v_mul_f16_sdwa v132, v29, v135 dst_sel:DWORD dst_unused:UNUSED_PAD src0_sel:WORD_1 src1_sel:DWORD
	v_fmac_f16_e32 v130, v30, v122
	v_mul_f16_sdwa v122, v29, v124 dst_sel:DWORD dst_unused:UNUSED_PAD src0_sel:WORD_1 src1_sel:DWORD
	v_fma_f16 v90, v30, v133, -v90
	v_mul_f16_sdwa v133, v30, v136 dst_sel:DWORD dst_unused:UNUSED_PAD src0_sel:WORD_1 src1_sel:DWORD
	;; [unrolled: 4-line block ×4, first 2 shown]
	v_fmac_f16_e32 v135, v29, v125
	v_mul_f16_sdwa v125, v30, v64 dst_sel:DWORD dst_unused:UNUSED_PAD src0_sel:WORD_1 src1_sel:DWORD
	v_fma_f16 v29, v29, v140, -v123
	v_add_f16_e32 v123, v137, v141
	v_fmac_f16_e32 v136, v30, v64
	v_add_f16_e32 v64, v66, v137
	v_fma_f16 v30, v30, v126, -v125
	v_add_f16_e32 v125, v127, v69
	v_fma_f16 v66, -0.5, v123, v66
	v_sub_f16_e32 v123, v127, v69
	v_add_f16_e32 v126, v70, v127
	v_lshrrev_b32_e32 v131, 16, v91
	v_fmac_f16_e32 v70, -0.5, v125
	v_sub_f16_e32 v125, v137, v141
	v_fmamk_f16 v127, v123, 0xbaee, v66
	v_fmac_f16_e32 v66, 0x3aee, v123
	v_add_f16_e32 v69, v126, v69
	v_add_f16_e32 v123, v139, v128
	v_fmamk_f16 v126, v125, 0x3aee, v70
	v_fmac_f16_e32 v70, 0xbaee, v125
	v_add_f16_e32 v125, v87, v89
	v_add_f16_e32 v137, v67, v139
	v_fmac_f16_e32 v67, -0.5, v123
	v_sub_f16_e32 v123, v87, v89
	v_add_f16_e32 v87, v93, v87
	v_fmac_f16_e32 v93, -0.5, v125
	v_sub_f16_e32 v125, v139, v128
	v_add_f16_e32 v137, v137, v128
	v_fmamk_f16 v128, v123, 0xbaee, v67
	v_fmac_f16_e32 v67, 0x3aee, v123
	v_add_f16_e32 v87, v87, v89
	v_add_f16_e32 v89, v129, v130
	v_fmamk_f16 v123, v125, 0x3aee, v93
	v_fmac_f16_e32 v93, 0xbaee, v125
	v_add_f16_e32 v125, v88, v90
	v_add_f16_e32 v139, v91, v129
	v_fma_f16 v89, -0.5, v89, v91
	v_sub_f16_e32 v91, v88, v90
	v_add_f16_e32 v88, v131, v88
	v_fmac_f16_e32 v131, -0.5, v125
	v_sub_f16_e32 v125, v129, v130
	v_lshrrev_b32_e32 v134, 16, v92
	v_fmamk_f16 v129, v91, 0xbaee, v89
	v_fmac_f16_e32 v89, 0x3aee, v91
	v_add_f16_e32 v88, v88, v90
	v_add_f16_e32 v90, v132, v133
	v_fmamk_f16 v91, v125, 0x3aee, v131
	v_fmac_f16_e32 v131, 0xbaee, v125
	v_add_f16_e32 v125, v122, v124
	v_add_f16_e32 v139, v139, v130
	v_add_f16_e32 v130, v92, v132
	v_fmac_f16_e32 v92, -0.5, v90
	v_sub_f16_e32 v90, v122, v124
	v_add_f16_e32 v122, v134, v122
	v_fmac_f16_e32 v134, -0.5, v125
	v_sub_f16_e32 v125, v132, v133
	v_lshrrev_b32_e32 v138, 16, v68
	v_fmamk_f16 v132, v90, 0xbaee, v92
	v_fmac_f16_e32 v92, 0x3aee, v90
	v_add_f16_e32 v90, v122, v124
	v_add_f16_e32 v122, v135, v136
	v_fmamk_f16 v124, v125, 0x3aee, v134
	v_fmac_f16_e32 v134, 0xbaee, v125
	v_add_f16_e32 v125, v29, v30
	v_add_f16_e32 v64, v64, v141
	;; [unrolled: 1-line block ×4, first 2 shown]
	v_fmac_f16_e32 v68, -0.5, v122
	v_sub_f16_e32 v122, v29, v30
	v_add_f16_e32 v29, v138, v29
	v_fmac_f16_e32 v138, -0.5, v125
	v_sub_f16_e32 v125, v135, v136
	v_pack_b32_f16 v64, v64, v69
	v_pack_b32_f16 v69, v127, v126
	;; [unrolled: 1-line block ×5, first 2 shown]
	v_add_f16_e32 v133, v133, v136
	v_fmamk_f16 v135, v122, 0xbaee, v68
	v_add_f16_e32 v29, v29, v30
	v_fmamk_f16 v30, v125, 0x3aee, v138
	v_pack_b32_f16 v67, v67, v93
	v_fmac_f16_e32 v68, 0x3aee, v122
	v_fmac_f16_e32 v138, 0xbaee, v125
	v_pack_b32_f16 v88, v139, v88
	v_pack_b32_f16 v91, v129, v91
	ds_write2_b32 v97, v64, v69 offset1:2
	ds_write_b32 v97, v66 offset:16
	ds_write2_b32 v96, v70, v87 offset1:2
	ds_write_b32 v96, v67 offset:16
	ds_write2_b32 v95, v88, v91 offset1:2
	v_pack_b32_f16 v64, v89, v131
	v_pack_b32_f16 v66, v130, v90
	;; [unrolled: 1-line block ×7, first 2 shown]
	ds_write_b32 v95, v64 offset:16
	ds_write2_b32 v94, v66, v67 offset1:2
	ds_write_b32 v94, v69 offset:16
	ds_write2_b32 v98, v29, v30 offset1:2
	ds_write_b32 v98, v68 offset:16
	s_waitcnt lgkmcnt(0)
	s_barrier
	buffer_gl0_inv
	ds_read2_b32 v[29:30], v71 offset1:126
	ds_read2_b32 v[66:67], v57 offset0:120 offset1:246
	ds_read2_b32 v[68:69], v59 offset0:108 offset1:234
	ds_read2_b32 v[87:88], v60 offset0:116 offset1:242
	ds_read2_b32 v[89:90], v61 offset0:124 offset1:250
	ds_read2_b32 v[91:92], v63 offset0:104 offset1:230
	ds_read2_b32 v[93:94], v62 offset0:112 offset1:238
	ds_read_b32 v64, v71 offset:7056
	s_waitcnt lgkmcnt(0)
	s_barrier
	buffer_gl0_inv
	v_lshrrev_b32_e32 v70, 16, v29
	v_lshrrev_b32_e32 v95, 16, v67
	;; [unrolled: 1-line block ×4, first 2 shown]
	v_mul_f16_sdwa v132, v39, v67 dst_sel:DWORD dst_unused:UNUSED_PAD src0_sel:WORD_1 src1_sel:DWORD
	v_lshrrev_b32_e32 v122, 16, v69
	v_mul_f16_sdwa v130, v39, v95 dst_sel:DWORD dst_unused:UNUSED_PAD src0_sel:WORD_1 src1_sel:DWORD
	v_mul_f16_sdwa v134, v40, v96 dst_sel:DWORD dst_unused:UNUSED_PAD src0_sel:WORD_1 src1_sel:DWORD
	v_lshrrev_b32_e32 v124, 16, v88
	v_lshrrev_b32_e32 v125, 16, v91
	;; [unrolled: 1-line block ×3, first 2 shown]
	v_fmac_f16_e32 v130, v39, v67
	v_mul_f16_sdwa v67, v40, v68 dst_sel:DWORD dst_unused:UNUSED_PAD src0_sel:WORD_1 src1_sel:DWORD
	v_fma_f16 v39, v39, v95, -v132
	v_mul_f16_sdwa v95, v37, v98 dst_sel:DWORD dst_unused:UNUSED_PAD src0_sel:WORD_1 src1_sel:DWORD
	v_fmac_f16_e32 v134, v40, v68
	v_mul_f16_sdwa v68, v37, v87 dst_sel:DWORD dst_unused:UNUSED_PAD src0_sel:WORD_1 src1_sel:DWORD
	v_fma_f16 v40, v40, v96, -v67
	v_mul_f16_sdwa v67, v38, v122 dst_sel:DWORD dst_unused:UNUSED_PAD src0_sel:WORD_1 src1_sel:DWORD
	;; [unrolled: 4-line block ×4, first 2 shown]
	v_lshrrev_b32_e32 v128, 16, v92
	v_fmac_f16_e32 v68, v35, v88
	v_mul_f16_sdwa v88, v36, v91 dst_sel:DWORD dst_unused:UNUSED_PAD src0_sel:WORD_1 src1_sel:DWORD
	v_lshrrev_b32_e32 v131, 16, v94
	v_fma_f16 v35, v35, v124, -v69
	v_mul_f16_sdwa v69, v33, v127 dst_sel:DWORD dst_unused:UNUSED_PAD src0_sel:WORD_1 src1_sel:DWORD
	v_fmac_f16_e32 v87, v36, v91
	v_mul_f16_sdwa v91, v33, v93 dst_sel:DWORD dst_unused:UNUSED_PAD src0_sel:WORD_1 src1_sel:DWORD
	v_fma_f16 v36, v36, v125, -v88
	v_mul_f16_sdwa v88, v34, v128 dst_sel:DWORD dst_unused:UNUSED_PAD src0_sel:WORD_1 src1_sel:DWORD
	v_lshrrev_b32_e32 v133, 16, v64
	v_fmac_f16_e32 v69, v33, v93
	v_mul_f16_sdwa v93, v34, v92 dst_sel:DWORD dst_unused:UNUSED_PAD src0_sel:WORD_1 src1_sel:DWORD
	v_fma_f16 v33, v33, v127, -v91
	v_mul_f16_sdwa v91, v31, v131 dst_sel:DWORD dst_unused:UNUSED_PAD src0_sel:WORD_1 src1_sel:DWORD
	v_fmac_f16_e32 v88, v34, v92
	v_mul_f16_sdwa v92, v31, v94 dst_sel:DWORD dst_unused:UNUSED_PAD src0_sel:WORD_1 src1_sel:DWORD
	v_fma_f16 v34, v34, v128, -v93
	v_mul_f16_sdwa v93, v32, v133 dst_sel:DWORD dst_unused:UNUSED_PAD src0_sel:WORD_1 src1_sel:DWORD
	v_fmac_f16_e32 v91, v31, v94
	v_mul_f16_sdwa v94, v32, v64 dst_sel:DWORD dst_unused:UNUSED_PAD src0_sel:WORD_1 src1_sel:DWORD
	v_fma_f16 v31, v31, v131, -v92
	v_add_f16_e32 v92, v130, v134
	v_fmac_f16_e32 v93, v32, v64
	v_add_f16_e32 v64, v29, v130
	v_fma_f16 v32, v32, v133, -v94
	v_add_f16_e32 v94, v39, v40
	v_fma_f16 v29, -0.5, v92, v29
	v_sub_f16_e32 v92, v39, v40
	v_add_f16_e32 v39, v70, v39
	v_lshrrev_b32_e32 v97, 16, v30
	v_fmac_f16_e32 v70, -0.5, v94
	v_sub_f16_e32 v94, v130, v134
	v_fmamk_f16 v96, v92, 0xbaee, v29
	v_add_f16_e32 v39, v39, v40
	v_add_f16_e32 v40, v95, v67
	v_fmac_f16_e32 v29, 0x3aee, v92
	v_fmamk_f16 v92, v94, 0x3aee, v70
	v_add_f16_e32 v98, v30, v95
	v_fmac_f16_e32 v70, 0xbaee, v94
	v_add_f16_e32 v94, v37, v38
	v_fmac_f16_e32 v30, -0.5, v40
	v_sub_f16_e32 v40, v37, v38
	v_add_f16_e32 v37, v97, v37
	v_add_f16_e32 v98, v98, v67
	v_fmac_f16_e32 v97, -0.5, v94
	v_sub_f16_e32 v67, v95, v67
	v_lshrrev_b32_e32 v123, 16, v89
	v_add_f16_e32 v37, v37, v38
	v_add_f16_e32 v38, v68, v87
	v_fmamk_f16 v94, v40, 0xbaee, v30
	v_fmac_f16_e32 v30, 0x3aee, v40
	v_fmamk_f16 v40, v67, 0x3aee, v97
	v_fmac_f16_e32 v97, 0xbaee, v67
	v_add_f16_e32 v67, v35, v36
	v_add_f16_e32 v95, v89, v68
	v_fma_f16 v38, -0.5, v38, v89
	v_sub_f16_e32 v89, v35, v36
	v_add_f16_e32 v35, v123, v35
	v_fmac_f16_e32 v123, -0.5, v67
	v_sub_f16_e32 v67, v68, v87
	v_lshrrev_b32_e32 v126, 16, v90
	v_add_f16_e32 v95, v95, v87
	v_add_f16_e32 v35, v35, v36
	;; [unrolled: 1-line block ×3, first 2 shown]
	v_fmamk_f16 v87, v67, 0x3aee, v123
	v_fmac_f16_e32 v123, 0xbaee, v67
	v_add_f16_e32 v67, v33, v34
	v_fmamk_f16 v68, v89, 0xbaee, v38
	v_fmac_f16_e32 v38, 0x3aee, v89
	v_add_f16_e32 v89, v90, v69
	v_fmac_f16_e32 v90, -0.5, v36
	v_sub_f16_e32 v36, v33, v34
	v_add_f16_e32 v33, v126, v33
	v_fmac_f16_e32 v126, -0.5, v67
	v_sub_f16_e32 v67, v69, v88
	v_lshrrev_b32_e32 v129, 16, v66
	v_fmamk_f16 v69, v36, 0xbaee, v90
	v_add_f16_e32 v33, v33, v34
	v_add_f16_e32 v34, v91, v93
	v_fmac_f16_e32 v90, 0x3aee, v36
	v_fmamk_f16 v36, v67, 0x3aee, v126
	v_fmac_f16_e32 v126, 0xbaee, v67
	v_add_f16_e32 v67, v31, v32
	v_add_f16_e32 v64, v64, v134
	;; [unrolled: 1-line block ×4, first 2 shown]
	v_fmac_f16_e32 v66, -0.5, v34
	v_sub_f16_e32 v34, v31, v32
	v_add_f16_e32 v31, v129, v31
	v_fmac_f16_e32 v129, -0.5, v67
	v_sub_f16_e32 v67, v91, v93
	v_pack_b32_f16 v29, v29, v70
	v_fmamk_f16 v91, v34, 0xbaee, v66
	v_fmac_f16_e32 v66, 0x3aee, v34
	v_pack_b32_f16 v34, v64, v39
	v_pack_b32_f16 v39, v96, v92
	;; [unrolled: 1-line block ×4, first 2 shown]
	v_add_f16_e32 v88, v88, v93
	v_add_f16_e32 v31, v31, v32
	v_fmamk_f16 v32, v67, 0x3aee, v129
	v_pack_b32_f16 v30, v30, v97
	v_fmac_f16_e32 v129, 0xbaee, v67
	v_pack_b32_f16 v35, v95, v35
	v_pack_b32_f16 v64, v68, v87
	ds_write2_b32 v104, v34, v39 offset1:6
	ds_write_b32 v104, v29 offset:48
	ds_write2_b32 v103, v37, v40 offset1:6
	ds_write_b32 v103, v30 offset:48
	ds_write2_b32 v102, v35, v64 offset1:6
	v_pack_b32_f16 v29, v38, v123
	v_pack_b32_f16 v30, v89, v33
	;; [unrolled: 1-line block ×7, first 2 shown]
	ds_write_b32 v102, v29 offset:48
	ds_write2_b32 v101, v30, v33 offset1:6
	ds_write_b32 v101, v34 offset:48
	ds_write2_b32 v100, v31, v32 offset1:6
	ds_write_b32 v100, v35 offset:48
	s_waitcnt lgkmcnt(0)
	s_barrier
	buffer_gl0_inv
	ds_read2_b32 v[31:32], v71 offset1:126
	ds_read2_b32 v[29:30], v57 offset0:120 offset1:246
	ds_read2_b32 v[33:34], v59 offset0:108 offset1:234
	;; [unrolled: 1-line block ×6, first 2 shown]
	ds_read_b32 v39, v71 offset:7056
	s_waitcnt lgkmcnt(0)
	s_barrier
	buffer_gl0_inv
	v_lshrrev_b32_e32 v57, 16, v31
	v_lshrrev_b32_e32 v63, 16, v30
	;; [unrolled: 1-line block ×4, first 2 shown]
	v_mul_f16_sdwa v93, v51, v30 dst_sel:DWORD dst_unused:UNUSED_PAD src0_sel:WORD_1 src1_sel:DWORD
	v_lshrrev_b32_e32 v68, 16, v34
	v_mul_f16_sdwa v91, v51, v63 dst_sel:DWORD dst_unused:UNUSED_PAD src0_sel:WORD_1 src1_sel:DWORD
	v_mul_f16_sdwa v95, v52, v64 dst_sel:DWORD dst_unused:UNUSED_PAD src0_sel:WORD_1 src1_sel:DWORD
	v_lshrrev_b32_e32 v70, 16, v36
	v_lshrrev_b32_e32 v87, 16, v59
	;; [unrolled: 1-line block ×3, first 2 shown]
	v_fmac_f16_e32 v91, v51, v30
	v_mul_f16_sdwa v30, v52, v33 dst_sel:DWORD dst_unused:UNUSED_PAD src0_sel:WORD_1 src1_sel:DWORD
	v_fma_f16 v51, v51, v63, -v93
	v_mul_f16_sdwa v63, v49, v67 dst_sel:DWORD dst_unused:UNUSED_PAD src0_sel:WORD_1 src1_sel:DWORD
	v_fmac_f16_e32 v95, v52, v33
	v_mul_f16_sdwa v33, v49, v35 dst_sel:DWORD dst_unused:UNUSED_PAD src0_sel:WORD_1 src1_sel:DWORD
	v_fma_f16 v30, v52, v64, -v30
	v_mul_f16_sdwa v52, v50, v68 dst_sel:DWORD dst_unused:UNUSED_PAD src0_sel:WORD_1 src1_sel:DWORD
	;; [unrolled: 4-line block ×4, first 2 shown]
	v_lshrrev_b32_e32 v90, 16, v60
	v_fmac_f16_e32 v49, v47, v36
	v_mul_f16_sdwa v36, v48, v59 dst_sel:DWORD dst_unused:UNUSED_PAD src0_sel:WORD_1 src1_sel:DWORD
	v_lshrrev_b32_e32 v92, 16, v62
	v_fma_f16 v34, v47, v70, -v34
	v_mul_f16_sdwa v47, v45, v89 dst_sel:DWORD dst_unused:UNUSED_PAD src0_sel:WORD_1 src1_sel:DWORD
	v_fmac_f16_e32 v50, v48, v59
	v_mul_f16_sdwa v59, v45, v61 dst_sel:DWORD dst_unused:UNUSED_PAD src0_sel:WORD_1 src1_sel:DWORD
	v_fma_f16 v36, v48, v87, -v36
	v_mul_f16_sdwa v48, v46, v90 dst_sel:DWORD dst_unused:UNUSED_PAD src0_sel:WORD_1 src1_sel:DWORD
	v_lshrrev_b32_e32 v94, 16, v39
	v_fmac_f16_e32 v47, v45, v61
	v_mul_f16_sdwa v61, v46, v60 dst_sel:DWORD dst_unused:UNUSED_PAD src0_sel:WORD_1 src1_sel:DWORD
	v_fma_f16 v45, v45, v89, -v59
	v_mul_f16_sdwa v59, v43, v92 dst_sel:DWORD dst_unused:UNUSED_PAD src0_sel:WORD_1 src1_sel:DWORD
	v_fmac_f16_e32 v48, v46, v60
	v_mul_f16_sdwa v60, v43, v62 dst_sel:DWORD dst_unused:UNUSED_PAD src0_sel:WORD_1 src1_sel:DWORD
	v_fma_f16 v46, v46, v90, -v61
	v_mul_f16_sdwa v61, v44, v94 dst_sel:DWORD dst_unused:UNUSED_PAD src0_sel:WORD_1 src1_sel:DWORD
	v_fmac_f16_e32 v59, v43, v62
	v_mul_f16_sdwa v62, v44, v39 dst_sel:DWORD dst_unused:UNUSED_PAD src0_sel:WORD_1 src1_sel:DWORD
	v_fma_f16 v43, v43, v92, -v60
	v_add_f16_e32 v60, v91, v95
	v_fmac_f16_e32 v61, v44, v39
	v_add_f16_e32 v39, v31, v91
	v_fma_f16 v44, v44, v94, -v62
	v_add_f16_e32 v62, v51, v30
	v_fma_f16 v31, -0.5, v60, v31
	v_sub_f16_e32 v60, v51, v30
	v_add_f16_e32 v51, v57, v51
	v_lshrrev_b32_e32 v66, 16, v32
	v_fmac_f16_e32 v57, -0.5, v62
	v_sub_f16_e32 v62, v91, v95
	v_fmamk_f16 v64, v60, 0xbaee, v31
	v_add_f16_e32 v30, v51, v30
	v_add_f16_e32 v51, v63, v52
	v_fmac_f16_e32 v31, 0x3aee, v60
	v_fmamk_f16 v60, v62, 0x3aee, v57
	v_add_f16_e32 v67, v32, v63
	v_fmac_f16_e32 v57, 0xbaee, v62
	v_add_f16_e32 v62, v33, v35
	v_fmac_f16_e32 v32, -0.5, v51
	v_sub_f16_e32 v51, v33, v35
	v_add_f16_e32 v33, v66, v33
	v_add_f16_e32 v67, v67, v52
	v_fmac_f16_e32 v66, -0.5, v62
	v_sub_f16_e32 v52, v63, v52
	v_lshrrev_b32_e32 v69, 16, v37
	v_add_f16_e32 v33, v33, v35
	v_add_f16_e32 v35, v49, v50
	v_fmamk_f16 v62, v51, 0xbaee, v32
	v_fmac_f16_e32 v32, 0x3aee, v51
	v_fmamk_f16 v51, v52, 0x3aee, v66
	v_fmac_f16_e32 v66, 0xbaee, v52
	v_add_f16_e32 v52, v34, v36
	v_add_f16_e32 v63, v37, v49
	v_fma_f16 v35, -0.5, v35, v37
	v_sub_f16_e32 v37, v34, v36
	v_add_f16_e32 v34, v69, v34
	v_fmac_f16_e32 v69, -0.5, v52
	v_sub_f16_e32 v49, v49, v50
	v_lshrrev_b32_e32 v88, 16, v38
	v_add_f16_e32 v63, v63, v50
	v_add_f16_e32 v34, v34, v36
	;; [unrolled: 1-line block ×3, first 2 shown]
	v_fmamk_f16 v50, v37, 0xbaee, v35
	v_fmac_f16_e32 v35, 0x3aee, v37
	v_fmamk_f16 v37, v49, 0x3aee, v69
	v_fmac_f16_e32 v69, 0xbaee, v49
	v_add_f16_e32 v49, v45, v46
	v_add_f16_e32 v52, v38, v47
	v_fmac_f16_e32 v38, -0.5, v36
	v_sub_f16_e32 v36, v45, v46
	v_add_f16_e32 v45, v88, v45
	v_fmac_f16_e32 v88, -0.5, v49
	v_sub_f16_e32 v47, v47, v48
	v_add_f16_e32 v52, v52, v48
	v_fmamk_f16 v48, v36, 0xbaee, v38
	v_fmac_f16_e32 v38, 0x3aee, v36
	v_add_f16_e32 v36, v45, v46
	v_add_f16_e32 v45, v59, v61
	v_lshrrev_b32_e32 v40, 16, v29
	v_fmamk_f16 v46, v47, 0x3aee, v88
	v_fmac_f16_e32 v88, 0xbaee, v47
	v_add_f16_e32 v47, v43, v44
	v_add_f16_e32 v39, v39, v95
	;; [unrolled: 1-line block ×3, first 2 shown]
	v_fmac_f16_e32 v29, -0.5, v45
	v_sub_f16_e32 v45, v43, v44
	v_add_f16_e32 v43, v40, v43
	v_fmac_f16_e32 v40, -0.5, v47
	v_sub_f16_e32 v47, v59, v61
	v_pack_b32_f16 v30, v39, v30
	v_pack_b32_f16 v39, v64, v60
	;; [unrolled: 1-line block ×3, first 2 shown]
	v_fmamk_f16 v59, v45, 0xbaee, v29
	v_fmac_f16_e32 v29, 0x3aee, v45
	v_pack_b32_f16 v33, v67, v33
	v_pack_b32_f16 v45, v62, v51
	v_add_f16_e32 v49, v49, v61
	v_add_f16_e32 v43, v43, v44
	v_fmamk_f16 v44, v47, 0x3aee, v40
	v_pack_b32_f16 v32, v32, v66
	v_fmac_f16_e32 v40, 0xbaee, v47
	v_pack_b32_f16 v34, v63, v34
	v_pack_b32_f16 v37, v50, v37
	ds_write2_b32 v109, v30, v39 offset1:18
	ds_write_b32 v109, v31 offset:144
	ds_write2_b32 v108, v33, v45 offset1:18
	ds_write_b32 v108, v32 offset:144
	ds_write2_b32 v107, v34, v37 offset1:18
	v_pack_b32_f16 v30, v35, v69
	v_pack_b32_f16 v31, v52, v36
	;; [unrolled: 1-line block ×7, first 2 shown]
	ds_write_b32 v107, v30 offset:144
	ds_write2_b32 v106, v31, v32 offset1:18
	ds_write_b32 v106, v33 offset:144
	ds_write2_b32 v105, v34, v35 offset1:18
	ds_write_b32 v105, v36 offset:144
	v_add_nc_u32_e32 v32, 0x400, v71
	s_waitcnt lgkmcnt(0)
	s_barrier
	buffer_gl0_inv
	ds_read2_b32 v[30:31], v71 offset1:126
	ds_read2_b32 v[36:37], v32 offset0:14 offset1:140
	v_add_nc_u32_e32 v32, 0x800, v71
	v_add_nc_u32_e32 v33, 0xc00, v71
	;; [unrolled: 1-line block ×5, first 2 shown]
	ds_read2_b32 v[45:46], v32 offset0:28 offset1:154
	ds_read2_b32 v[43:44], v33 offset0:42 offset1:168
	;; [unrolled: 1-line block ×5, first 2 shown]
	s_and_saveexec_b32 s1, s0
	s_cbranch_execz .LBB0_19
; %bb.18:
	ds_read_b32 v29, v71 offset:1008
	ds_read_b32 v58, v71 offset:2088
	;; [unrolled: 1-line block ×7, first 2 shown]
	s_waitcnt lgkmcnt(6)
	v_lshrrev_b32_e32 v40, 16, v29
	s_waitcnt lgkmcnt(5)
	v_lshrrev_b32_e32 v65, 16, v58
	;; [unrolled: 2-line block ×7, first 2 shown]
.LBB0_19:
	s_or_b32 exec_lo, exec_lo, s1
	s_waitcnt lgkmcnt(5)
	v_lshrrev_b32_e32 v47, 16, v36
	s_waitcnt lgkmcnt(4)
	v_lshrrev_b32_e32 v48, 16, v45
	;; [unrolled: 2-line block ×4, first 2 shown]
	v_mul_f16_sdwa v64, v8, v36 dst_sel:DWORD dst_unused:UNUSED_PAD src0_sel:WORD_1 src1_sel:DWORD
	v_mul_f16_sdwa v63, v8, v47 dst_sel:DWORD dst_unused:UNUSED_PAD src0_sel:WORD_1 src1_sel:DWORD
	;; [unrolled: 1-line block ×4, first 2 shown]
	s_waitcnt lgkmcnt(1)
	v_lshrrev_b32_e32 v51, 16, v34
	s_waitcnt lgkmcnt(0)
	v_lshrrev_b32_e32 v52, 16, v32
	v_lshrrev_b32_e32 v57, 16, v37
	v_fmac_f16_e32 v63, v8, v36
	v_fma_f16 v8, v8, v47, -v64
	v_fmac_f16_e32 v66, v9, v45
	v_fma_f16 v9, v9, v48, -v67
	v_mul_f16_sdwa v36, v10, v49 dst_sel:DWORD dst_unused:UNUSED_PAD src0_sel:WORD_1 src1_sel:DWORD
	v_mul_f16_sdwa v45, v10, v43 dst_sel:DWORD dst_unused:UNUSED_PAD src0_sel:WORD_1 src1_sel:DWORD
	;; [unrolled: 1-line block ×4, first 2 shown]
	v_lshrrev_b32_e32 v59, 16, v46
	v_lshrrev_b32_e32 v60, 16, v44
	;; [unrolled: 1-line block ×3, first 2 shown]
	v_mul_f16_sdwa v64, v55, v51 dst_sel:DWORD dst_unused:UNUSED_PAD src0_sel:WORD_1 src1_sel:DWORD
	v_fmac_f16_e32 v36, v10, v43
	v_fma_f16 v10, v10, v49, -v45
	v_fmac_f16_e32 v47, v11, v38
	v_fma_f16 v11, v11, v50, -v48
	v_mul_f16_sdwa v38, v56, v52 dst_sel:DWORD dst_unused:UNUSED_PAD src0_sel:WORD_1 src1_sel:DWORD
	v_mul_f16_sdwa v43, v56, v32 dst_sel:DWORD dst_unused:UNUSED_PAD src0_sel:WORD_1 src1_sel:DWORD
	;; [unrolled: 1-line block ×4, first 2 shown]
	v_lshrrev_b32_e32 v62, 16, v35
	v_lshrrev_b32_e32 v68, 16, v33
	v_fmac_f16_e32 v64, v55, v34
	v_mul_f16_sdwa v34, v55, v34 dst_sel:DWORD dst_unused:UNUSED_PAD src0_sel:WORD_1 src1_sel:DWORD
	v_fmac_f16_e32 v38, v56, v32
	v_fma_f16 v32, v56, v52, -v43
	v_fmac_f16_e32 v45, v4, v37
	v_fma_f16 v4, v4, v57, -v48
	v_mul_f16_sdwa v37, v5, v59 dst_sel:DWORD dst_unused:UNUSED_PAD src0_sel:WORD_1 src1_sel:DWORD
	v_mul_f16_sdwa v43, v5, v46 dst_sel:DWORD dst_unused:UNUSED_PAD src0_sel:WORD_1 src1_sel:DWORD
	;; [unrolled: 1-line block ×5, first 2 shown]
	v_fma_f16 v34, v55, v51, -v34
	v_fmac_f16_e32 v37, v5, v46
	v_fma_f16 v5, v5, v59, -v43
	v_fmac_f16_e32 v48, v6, v44
	;; [unrolled: 2-line block ×3, first 2 shown]
	v_mul_f16_sdwa v39, v7, v39 dst_sel:DWORD dst_unused:UNUSED_PAD src0_sel:WORD_1 src1_sel:DWORD
	v_mul_f16_sdwa v43, v53, v62 dst_sel:DWORD dst_unused:UNUSED_PAD src0_sel:WORD_1 src1_sel:DWORD
	;; [unrolled: 1-line block ×5, first 2 shown]
	v_fma_f16 v7, v7, v61, -v39
	v_fmac_f16_e32 v43, v53, v35
	v_fma_f16 v35, v53, v62, -v44
	v_fmac_f16_e32 v46, v54, v33
	v_fma_f16 v33, v54, v68, -v49
	v_add_f16_e32 v39, v63, v38
	v_add_f16_e32 v44, v8, v32
	v_sub_f16_e32 v8, v8, v32
	v_add_f16_e32 v32, v66, v64
	v_add_f16_e32 v49, v9, v34
	v_sub_f16_e32 v38, v63, v38
	v_sub_f16_e32 v51, v66, v64
	v_sub_f16_e32 v9, v9, v34
	v_add_f16_e32 v34, v36, v47
	v_add_f16_e32 v52, v10, v11
	v_sub_f16_e32 v36, v47, v36
	v_sub_f16_e32 v10, v11, v10
	v_add_f16_e32 v11, v32, v39
	v_add_f16_e32 v47, v49, v44
	v_sub_f16_e32 v53, v32, v39
	v_sub_f16_e32 v54, v49, v44
	;; [unrolled: 1-line block ×6, first 2 shown]
	v_add_f16_e32 v55, v36, v51
	v_add_f16_e32 v56, v10, v9
	v_sub_f16_e32 v57, v36, v51
	v_sub_f16_e32 v59, v10, v9
	;; [unrolled: 1-line block ×3, first 2 shown]
	v_add_f16_e32 v11, v34, v11
	v_add_f16_e32 v34, v52, v47
	v_sub_f16_e32 v9, v9, v8
	v_sub_f16_e32 v36, v38, v36
	;; [unrolled: 1-line block ×3, first 2 shown]
	v_add_f16_e32 v38, v55, v38
	v_add_f16_e32 v8, v56, v8
	;; [unrolled: 1-line block ×3, first 2 shown]
	v_add_f16_sdwa v30, v30, v34 dst_sel:DWORD dst_unused:UNUSED_PAD src0_sel:WORD_1 src1_sel:DWORD
	v_mul_f16_e32 v39, 0x3a52, v39
	v_mul_f16_e32 v44, 0x3a52, v44
	;; [unrolled: 1-line block ×8, first 2 shown]
	v_fmamk_f16 v11, v11, 0xbcab, v47
	v_fmamk_f16 v34, v34, 0xbcab, v30
	;; [unrolled: 1-line block ×4, first 2 shown]
	v_fma_f16 v52, v53, 0x39e0, -v52
	v_fma_f16 v55, v54, 0x39e0, -v55
	;; [unrolled: 1-line block ×4, first 2 shown]
	v_fmamk_f16 v53, v36, 0xb574, v56
	v_fmamk_f16 v54, v10, 0xb574, v57
	v_fma_f16 v36, v36, 0x3574, -v59
	v_fma_f16 v10, v10, 0x3574, -v60
	;; [unrolled: 1-line block ×3, first 2 shown]
	v_add_f16_e32 v32, v32, v11
	v_add_f16_e32 v49, v49, v34
	;; [unrolled: 1-line block ×6, first 2 shown]
	v_fmac_f16_e32 v53, 0xb70e, v38
	v_fmac_f16_e32 v10, 0xb70e, v8
	;; [unrolled: 1-line block ×3, first 2 shown]
	v_fma_f16 v9, v9, 0xbb00, -v57
	v_fmac_f16_e32 v51, 0xb70e, v38
	v_sub_f16_e32 v38, v49, v53
	v_add_f16_e32 v39, v10, v11
	v_sub_f16_e32 v44, v34, v36
	v_sub_f16_e32 v10, v11, v10
	v_add_f16_e32 v11, v36, v34
	v_add_f16_e32 v34, v53, v49
	;; [unrolled: 1-line block ×4, first 2 shown]
	v_sub_f16_e32 v45, v45, v46
	v_sub_f16_e32 v4, v4, v33
	v_add_f16_e32 v33, v37, v43
	v_add_f16_e32 v46, v5, v35
	v_fmac_f16_e32 v54, 0xb70e, v8
	v_fmac_f16_e32 v9, 0xb70e, v8
	v_sub_f16_e32 v37, v37, v43
	v_sub_f16_e32 v5, v5, v35
	v_add_f16_e32 v35, v48, v50
	v_add_f16_e32 v43, v6, v7
	v_sub_f16_e32 v48, v50, v48
	v_sub_f16_e32 v6, v7, v6
	v_add_f16_e32 v7, v33, v36
	v_add_f16_e32 v50, v46, v49
	;; [unrolled: 1-line block ×3, first 2 shown]
	v_sub_f16_e32 v56, v52, v9
	v_add_f16_e32 v57, v51, v55
	v_add_f16_e32 v9, v9, v52
	v_sub_f16_e32 v51, v55, v51
	v_sub_f16_e32 v32, v32, v54
	;; [unrolled: 1-line block ×8, first 2 shown]
	v_add_f16_e32 v54, v48, v37
	v_add_f16_e32 v55, v6, v5
	v_sub_f16_e32 v59, v48, v37
	v_sub_f16_e32 v60, v6, v5
	v_add_f16_e32 v7, v35, v7
	v_add_f16_e32 v35, v43, v50
	v_sub_f16_e32 v37, v37, v45
	v_sub_f16_e32 v5, v5, v4
	;; [unrolled: 1-line block ×4, first 2 shown]
	v_add_f16_e32 v43, v54, v45
	v_add_f16_e32 v4, v55, v4
	;; [unrolled: 1-line block ×3, first 2 shown]
	v_add_f16_sdwa v31, v31, v35 dst_sel:DWORD dst_unused:UNUSED_PAD src0_sel:WORD_1 src1_sel:DWORD
	v_mul_f16_e32 v36, 0x3a52, v36
	v_mul_f16_e32 v49, 0x3a52, v49
	;; [unrolled: 1-line block ×8, first 2 shown]
	v_fmamk_f16 v7, v7, 0xbcab, v45
	v_fmamk_f16 v35, v35, 0xbcab, v31
	;; [unrolled: 1-line block ×4, first 2 shown]
	v_fma_f16 v50, v52, 0x39e0, -v50
	v_fma_f16 v54, v53, 0x39e0, -v54
	;; [unrolled: 1-line block ×4, first 2 shown]
	v_fmamk_f16 v52, v48, 0xb574, v55
	v_fmamk_f16 v53, v6, 0xb574, v59
	v_fma_f16 v37, v37, 0xbb00, -v55
	v_fma_f16 v5, v5, 0xbb00, -v59
	;; [unrolled: 1-line block ×4, first 2 shown]
	v_add_f16_e32 v33, v33, v7
	v_add_f16_e32 v46, v46, v35
	v_fmac_f16_e32 v52, 0xb70e, v43
	v_fmac_f16_e32 v53, 0xb70e, v4
	v_add_f16_e32 v50, v50, v7
	v_add_f16_e32 v54, v54, v35
	;; [unrolled: 1-line block ×4, first 2 shown]
	v_fmac_f16_e32 v37, 0xb70e, v43
	v_fmac_f16_e32 v6, 0xb70e, v4
	;; [unrolled: 1-line block ×4, first 2 shown]
	v_pack_b32_f16 v30, v47, v30
	v_pack_b32_f16 v8, v8, v38
	v_add_f16_e32 v4, v53, v33
	v_sub_f16_e32 v36, v46, v52
	v_pack_b32_f16 v38, v39, v44
	v_pack_b32_f16 v39, v56, v57
	v_add_f16_e32 v43, v6, v7
	v_sub_f16_e32 v49, v35, v48
	v_sub_f16_e32 v55, v50, v5
	v_add_f16_e32 v59, v37, v54
	v_pack_b32_f16 v9, v9, v51
	v_pack_b32_f16 v10, v10, v11
	v_add_nc_u32_e32 v11, 0x200, v111
	v_add_f16_e32 v5, v5, v50
	v_sub_f16_e32 v37, v54, v37
	v_sub_f16_e32 v6, v7, v6
	v_add_f16_e32 v7, v48, v35
	v_sub_f16_e32 v33, v33, v53
	v_add_f16_e32 v35, v52, v46
	s_barrier
	buffer_gl0_inv
	ds_write2_b32 v111, v30, v8 offset1:54
	ds_write2_b32 v111, v38, v39 offset0:108 offset1:162
	ds_write2_b32 v11, v9, v10 offset0:88 offset1:142
	v_pack_b32_f16 v8, v32, v34
	v_pack_b32_f16 v9, v45, v31
	;; [unrolled: 1-line block ×7, first 2 shown]
	v_add_nc_u32_e32 v7, 0x200, v110
	v_pack_b32_f16 v30, v33, v35
	ds_write_b32 v111, v8 offset:1296
	ds_write2_b32 v110, v9, v4 offset1:54
	ds_write2_b32 v110, v10, v11 offset0:108 offset1:162
	ds_write2_b32 v7, v5, v6 offset0:88 offset1:142
	ds_write_b32 v110, v30 offset:1296
	s_and_saveexec_b32 s1, s0
	s_cbranch_execz .LBB0_21
; %bb.20:
	v_mul_f16_sdwa v4, v0, v65 dst_sel:DWORD dst_unused:UNUSED_PAD src0_sel:WORD_1 src1_sel:DWORD
	v_mul_f16_sdwa v7, v1, v116 dst_sel:DWORD dst_unused:UNUSED_PAD src0_sel:WORD_1 src1_sel:DWORD
	;; [unrolled: 1-line block ×10, first 2 shown]
	v_fmac_f16_e32 v7, v1, v112
	v_fmac_f16_e32 v4, v0, v58
	v_fma_f16 v30, v42, v121, -v30
	v_fma_f16 v0, v0, v65, -v33
	v_mul_f16_sdwa v33, v2, v113 dst_sel:DWORD dst_unused:UNUSED_PAD src0_sel:WORD_1 src1_sel:DWORD
	v_mul_f16_sdwa v37, v3, v114 dst_sel:DWORD dst_unused:UNUSED_PAD src0_sel:WORD_1 src1_sel:DWORD
	v_fma_f16 v35, v41, v119, -v35
	v_fma_f16 v1, v1, v116, -v36
	v_fmac_f16_e32 v5, v3, v114
	v_fmac_f16_e32 v6, v2, v113
	;; [unrolled: 1-line block ×4, first 2 shown]
	v_add_f16_e32 v36, v30, v0
	v_fma_f16 v2, v2, v115, -v33
	v_fma_f16 v3, v3, v117, -v37
	v_add_f16_e32 v33, v35, v1
	v_sub_f16_e32 v11, v7, v8
	v_sub_f16_e32 v31, v4, v9
	v_add_f16_e32 v4, v9, v4
	v_add_f16_e32 v38, v2, v3
	;; [unrolled: 1-line block ×4, first 2 shown]
	v_sub_f16_e32 v10, v5, v6
	v_add_f16_e32 v5, v6, v5
	v_sub_f16_e32 v41, v36, v38
	v_add_f16_e32 v39, v38, v39
	v_sub_f16_e32 v8, v38, v33
	v_add_f16_e32 v38, v7, v4
	v_sub_f16_e32 v2, v3, v2
	v_mul_f16_e32 v9, 0x3a52, v41
	v_sub_f16_e32 v41, v4, v5
	v_sub_f16_e32 v1, v1, v35
	v_add_f16_e32 v38, v5, v38
	v_sub_f16_e32 v0, v0, v30
	v_sub_f16_e32 v32, v10, v11
	;; [unrolled: 1-line block ×3, first 2 shown]
	v_add_f16_e32 v10, v10, v11
	v_mul_f16_e32 v3, 0x3a52, v41
	v_sub_f16_e32 v5, v5, v7
	v_add_f16_e32 v29, v29, v38
	v_sub_f16_e32 v30, v2, v1
	v_sub_f16_e32 v11, v11, v31
	;; [unrolled: 1-line block ×3, first 2 shown]
	v_add_f16_e32 v2, v2, v1
	v_sub_f16_e32 v33, v33, v36
	v_sub_f16_e32 v1, v1, v0
	v_mul_f16_e32 v32, 0x3846, v32
	v_add_f16_e32 v6, v40, v39
	v_mul_f16_e32 v40, 0x2b26, v8
	v_fmamk_f16 v35, v5, 0x2b26, v3
	v_fmamk_f16 v38, v38, 0xbcab, v29
	v_mul_f16_e32 v30, 0x3846, v30
	v_mul_f16_e32 v43, 0xbb00, v11
	v_fmamk_f16 v8, v8, 0x2b26, v9
	v_mul_f16_e32 v5, 0x2b26, v5
	v_sub_f16_e32 v4, v7, v4
	v_fma_f16 v7, v33, 0xb9e0, -v9
	v_mul_f16_e32 v9, 0xbb00, v1
	v_fmamk_f16 v37, v34, 0xb574, v32
	v_add_f16_e32 v10, v10, v31
	v_fmamk_f16 v39, v39, 0xbcab, v6
	v_add_f16_e32 v31, v35, v38
	;; [unrolled: 2-line block ×3, first 2 shown]
	v_fma_f16 v2, v34, 0x3574, -v43
	v_fma_f16 v33, v33, 0x39e0, -v40
	;; [unrolled: 1-line block ×7, first 2 shown]
	v_fmac_f16_e32 v37, 0xb70e, v10
	v_add_f16_e32 v8, v8, v39
	v_fmac_f16_e32 v35, 0xb70e, v0
	v_fmac_f16_e32 v2, 0xb70e, v10
	v_add_f16_e32 v7, v7, v39
	v_add_f16_e32 v5, v33, v39
	v_fmac_f16_e32 v11, 0xb70e, v10
	v_mov_b32_e32 v34, 2
	v_add_f16_e32 v3, v3, v38
	v_fmac_f16_e32 v9, 0xb70e, v0
	v_fmac_f16_e32 v1, 0xb70e, v0
	v_add_f16_e32 v0, v4, v38
	v_add_f16_e32 v42, v37, v8
	;; [unrolled: 1-line block ×3, first 2 shown]
	v_sub_f16_e32 v32, v5, v11
	v_add_f16_e32 v5, v11, v5
	v_sub_f16_e32 v2, v7, v2
	v_sub_f16_e32 v7, v8, v37
	v_add_f16_e32 v8, v35, v31
	v_lshlrev_b32_sdwa v11, v34, v99 dst_sel:DWORD dst_unused:UNUSED_PAD src0_sel:DWORD src1_sel:WORD_0
	v_sub_f16_e32 v30, v3, v9
	v_add_f16_e32 v33, v1, v0
	v_add_f16_e32 v3, v9, v3
	v_sub_f16_e32 v0, v0, v1
	v_sub_f16_e32 v4, v31, v35
	v_pack_b32_f16 v1, v29, v6
	v_pack_b32_f16 v6, v8, v7
	v_add_nc_u32_e32 v7, 0x1600, v11
	v_pack_b32_f16 v2, v3, v2
	v_pack_b32_f16 v0, v0, v5
	v_add_nc_u32_e32 v3, 0x1800, v11
	v_pack_b32_f16 v5, v33, v32
	v_pack_b32_f16 v8, v30, v10
	;; [unrolled: 1-line block ×3, first 2 shown]
	ds_write2_b32 v7, v1, v6 offset0:104 offset1:158
	ds_write2_b32 v3, v2, v0 offset0:84 offset1:138
	ds_write2_b32 v3, v5, v8 offset0:192 offset1:246
	ds_write_b32 v11, v4 offset:7344
.LBB0_21:
	s_or_b32 exec_lo, exec_lo, s1
	v_add_nc_u32_e32 v3, 0x200, v71
	v_add_nc_u32_e32 v6, 0xa00, v71
	;; [unrolled: 1-line block ×3, first 2 shown]
	s_waitcnt lgkmcnt(0)
	s_barrier
	buffer_gl0_inv
	ds_read2_b32 v[4:5], v3 offset0:124 offset1:250
	v_add_nc_u32_e32 v10, 0x1600, v71
	ds_read2_b32 v[6:7], v6 offset0:116 offset1:242
	v_add_nc_u32_e32 v2, 0x600, v71
	v_add_nc_u32_e32 v31, 0x1200, v71
	ds_read2_b32 v[0:1], v71 offset1:126
	ds_read2_b32 v[8:9], v8 offset0:112 offset1:238
	ds_read2_b32 v[10:11], v10 offset0:104 offset1:230
	;; [unrolled: 1-line block ×4, first 2 shown]
	ds_read_b32 v33, v71 offset:7056
	s_mov_b32 s4, 0xbc011567
	s_mov_b32 s5, 0x3f41566a
	s_waitcnt lgkmcnt(7)
	v_lshrrev_b32_e32 v36, 16, v5
	v_mul_f16_sdwa v50, v20, v5 dst_sel:DWORD dst_unused:UNUSED_PAD src0_sel:WORD_1 src1_sel:DWORD
	s_waitcnt lgkmcnt(6)
	v_lshrrev_b32_e32 v37, 16, v6
	s_waitcnt lgkmcnt(4)
	v_lshrrev_b32_e32 v38, 16, v9
	;; [unrolled: 2-line block ×4, first 2 shown]
	v_mul_f16_sdwa v49, v20, v36 dst_sel:DWORD dst_unused:UNUSED_PAD src0_sel:WORD_1 src1_sel:DWORD
	v_mul_f16_sdwa v51, v21, v37 dst_sel:DWORD dst_unused:UNUSED_PAD src0_sel:WORD_1 src1_sel:DWORD
	;; [unrolled: 1-line block ×4, first 2 shown]
	v_lshrrev_b32_e32 v41, 16, v7
	s_waitcnt lgkmcnt(1)
	v_lshrrev_b32_e32 v42, 16, v31
	v_fmac_f16_e32 v49, v20, v5
	v_fma_f16 v5, v20, v36, -v50
	v_fmac_f16_e32 v51, v21, v6
	v_fma_f16 v6, v21, v37, -v52
	v_fmac_f16_e32 v53, v22, v9
	v_mul_f16_sdwa v9, v22, v9 dst_sel:DWORD dst_unused:UNUSED_PAD src0_sel:WORD_1 src1_sel:DWORD
	v_mul_f16_sdwa v20, v23, v39 dst_sel:DWORD dst_unused:UNUSED_PAD src0_sel:WORD_1 src1_sel:DWORD
	;; [unrolled: 1-line block ×4, first 2 shown]
	v_lshrrev_b32_e32 v43, 16, v11
	v_lshrrev_b32_e32 v46, 16, v8
	v_mul_f16_sdwa v37, v16, v29 dst_sel:DWORD dst_unused:UNUSED_PAD src0_sel:WORD_1 src1_sel:DWORD
	v_fma_f16 v9, v22, v38, -v9
	v_fmac_f16_e32 v20, v23, v10
	v_fma_f16 v10, v23, v39, -v21
	v_fmac_f16_e32 v36, v16, v29
	v_mul_f16_sdwa v21, v17, v41 dst_sel:DWORD dst_unused:UNUSED_PAD src0_sel:WORD_1 src1_sel:DWORD
	v_mul_f16_sdwa v22, v17, v7 dst_sel:DWORD dst_unused:UNUSED_PAD src0_sel:WORD_1 src1_sel:DWORD
	;; [unrolled: 1-line block ×4, first 2 shown]
	v_lshrrev_b32_e32 v45, 16, v30
	v_fma_f16 v16, v16, v40, -v37
	v_mul_f16_sdwa v37, v19, v43 dst_sel:DWORD dst_unused:UNUSED_PAD src0_sel:WORD_1 src1_sel:DWORD
	v_fmac_f16_e32 v21, v17, v7
	v_fma_f16 v7, v17, v41, -v22
	v_fmac_f16_e32 v23, v18, v31
	v_fma_f16 v17, v18, v42, -v29
	v_mul_f16_sdwa v29, v13, v46 dst_sel:DWORD dst_unused:UNUSED_PAD src0_sel:WORD_1 src1_sel:DWORD
	v_mul_f16_sdwa v31, v13, v8 dst_sel:DWORD dst_unused:UNUSED_PAD src0_sel:WORD_1 src1_sel:DWORD
	v_lshrrev_b32_e32 v47, 16, v32
	v_fmac_f16_e32 v37, v19, v11
	v_mul_f16_sdwa v11, v19, v11 dst_sel:DWORD dst_unused:UNUSED_PAD src0_sel:WORD_1 src1_sel:DWORD
	v_mul_f16_sdwa v18, v12, v45 dst_sel:DWORD dst_unused:UNUSED_PAD src0_sel:WORD_1 src1_sel:DWORD
	;; [unrolled: 1-line block ×3, first 2 shown]
	v_fmac_f16_e32 v29, v13, v8
	v_fma_f16 v8, v13, v46, -v31
	v_add_f16_e32 v13, v51, v53
	s_waitcnt lgkmcnt(0)
	v_lshrrev_b32_e32 v48, 16, v33
	v_fma_f16 v11, v19, v43, -v11
	v_fmac_f16_e32 v18, v12, v30
	v_fma_f16 v12, v12, v45, -v22
	v_mul_f16_sdwa v19, v14, v47 dst_sel:DWORD dst_unused:UNUSED_PAD src0_sel:WORD_1 src1_sel:DWORD
	v_mul_f16_sdwa v22, v14, v32 dst_sel:DWORD dst_unused:UNUSED_PAD src0_sel:WORD_1 src1_sel:DWORD
	v_add_f16_e32 v31, v0, v49
	v_fma_f16 v13, -0.5, v13, v0
	v_sub_f16_e32 v38, v5, v10
	v_lshrrev_b32_e32 v34, 16, v0
	v_mul_f16_sdwa v30, v15, v48 dst_sel:DWORD dst_unused:UNUSED_PAD src0_sel:WORD_1 src1_sel:DWORD
	v_fmac_f16_e32 v19, v14, v32
	v_fma_f16 v14, v14, v47, -v22
	v_add_f16_e32 v22, v31, v51
	v_fmamk_f16 v31, v38, 0xbb9c, v13
	v_sub_f16_e32 v32, v6, v9
	v_sub_f16_e32 v39, v49, v51
	;; [unrolled: 1-line block ×3, first 2 shown]
	v_add_f16_e32 v41, v49, v20
	v_fmac_f16_e32 v13, 0x3b9c, v38
	v_fmac_f16_e32 v30, v15, v33
	v_mul_f16_sdwa v33, v15, v33 dst_sel:DWORD dst_unused:UNUSED_PAD src0_sel:WORD_1 src1_sel:DWORD
	v_add_f16_e32 v22, v22, v53
	v_fmac_f16_e32 v31, 0xb8b4, v32
	v_add_f16_e32 v39, v39, v40
	v_fma_f16 v0, -0.5, v41, v0
	v_sub_f16_e32 v40, v51, v49
	v_sub_f16_e32 v41, v53, v20
	v_fmac_f16_e32 v13, 0x38b4, v32
	v_add_f16_e32 v42, v34, v5
	v_add_f16_e32 v43, v6, v9
	v_fma_f16 v15, v15, v48, -v33
	v_add_f16_e32 v22, v22, v20
	v_fmac_f16_e32 v31, 0x34f2, v39
	v_fmamk_f16 v33, v32, 0x3b9c, v0
	v_add_f16_e32 v40, v40, v41
	v_fmac_f16_e32 v0, 0xbb9c, v32
	v_add_f16_e32 v32, v42, v6
	v_fma_f16 v41, -0.5, v43, v34
	v_sub_f16_e32 v20, v49, v20
	v_fmac_f16_e32 v13, 0x34f2, v39
	v_add_f16_e32 v39, v5, v10
	v_sub_f16_e32 v43, v5, v6
	v_sub_f16_e32 v5, v6, v5
	;; [unrolled: 1-line block ×3, first 2 shown]
	v_fmac_f16_e32 v33, 0xb8b4, v38
	v_fmac_f16_e32 v0, 0x38b4, v38
	v_add_f16_e32 v32, v32, v9
	v_fmamk_f16 v38, v20, 0x3b9c, v41
	v_sub_f16_e32 v42, v51, v53
	v_sub_f16_e32 v45, v10, v9
	v_fmac_f16_e32 v34, -0.5, v39
	v_fmac_f16_e32 v41, 0xbb9c, v20
	v_add_f16_e32 v9, v21, v23
	v_add_f16_e32 v5, v5, v6
	;; [unrolled: 1-line block ×3, first 2 shown]
	v_lshrrev_b32_e32 v35, 16, v1
	v_fmac_f16_e32 v33, 0x34f2, v40
	v_fmac_f16_e32 v0, 0x34f2, v40
	v_add_f16_e32 v32, v32, v10
	v_fmac_f16_e32 v38, 0x38b4, v42
	v_add_f16_e32 v39, v43, v45
	v_fmamk_f16 v40, v42, 0xbb9c, v34
	v_fmac_f16_e32 v41, 0xb8b4, v42
	v_fma_f16 v9, -0.5, v9, v1
	v_sub_f16_e32 v10, v16, v11
	v_fmac_f16_e32 v34, 0x3b9c, v42
	v_add_f16_e32 v6, v6, v21
	v_add_f16_e32 v46, v36, v37
	v_fmac_f16_e32 v38, 0x34f2, v39
	v_fmac_f16_e32 v40, 0x38b4, v20
	;; [unrolled: 1-line block ×3, first 2 shown]
	v_fmamk_f16 v39, v10, 0xbb9c, v9
	v_sub_f16_e32 v42, v7, v17
	v_sub_f16_e32 v43, v36, v21
	;; [unrolled: 1-line block ×3, first 2 shown]
	v_fmac_f16_e32 v34, 0xb8b4, v20
	v_add_f16_e32 v6, v6, v23
	v_fmac_f16_e32 v1, -0.5, v46
	v_fmac_f16_e32 v9, 0x3b9c, v10
	v_add_f16_e32 v46, v35, v16
	v_fmac_f16_e32 v40, 0x34f2, v5
	v_fmac_f16_e32 v39, 0xb8b4, v42
	v_add_f16_e32 v20, v43, v45
	v_fmac_f16_e32 v34, 0x34f2, v5
	v_add_f16_e32 v5, v6, v37
	v_fmamk_f16 v6, v42, 0x3b9c, v1
	v_sub_f16_e32 v43, v21, v36
	v_sub_f16_e32 v45, v23, v37
	v_fmac_f16_e32 v9, 0x38b4, v42
	v_add_f16_e32 v47, v7, v17
	v_fmac_f16_e32 v1, 0xbb9c, v42
	v_add_f16_e32 v42, v46, v7
	;; [unrolled: 2-line block ×3, first 2 shown]
	v_fma_f16 v45, -0.5, v47, v35
	v_sub_f16_e32 v36, v36, v37
	v_fmac_f16_e32 v1, 0x38b4, v10
	v_add_f16_e32 v10, v42, v17
	v_add_f16_e32 v37, v16, v11
	v_fmac_f16_e32 v39, 0x34f2, v20
	v_fmac_f16_e32 v9, 0x34f2, v20
	v_fmamk_f16 v20, v36, 0x3b9c, v45
	v_sub_f16_e32 v21, v21, v23
	v_sub_f16_e32 v23, v16, v7
	;; [unrolled: 1-line block ×3, first 2 shown]
	v_fmac_f16_e32 v35, -0.5, v37
	v_add_f16_e32 v10, v10, v11
	v_fmac_f16_e32 v45, 0xbb9c, v36
	v_sub_f16_e32 v7, v7, v16
	v_sub_f16_e32 v11, v17, v11
	v_add_f16_e32 v16, v29, v19
	v_fmac_f16_e32 v20, 0x38b4, v21
	v_add_f16_e32 v23, v23, v42
	v_fmamk_f16 v37, v21, 0xbb9c, v35
	v_fmac_f16_e32 v45, 0xb8b4, v21
	v_add_f16_e32 v7, v7, v11
	v_fmac_f16_e32 v35, 0x3b9c, v21
	v_add_f16_e32 v11, v4, v18
	v_fma_f16 v16, -0.5, v16, v4
	v_sub_f16_e32 v17, v12, v15
	v_fmac_f16_e32 v6, 0x34f2, v43
	v_fmac_f16_e32 v1, 0x34f2, v43
	;; [unrolled: 1-line block ×6, first 2 shown]
	v_add_f16_e32 v11, v11, v29
	v_fmamk_f16 v21, v17, 0xbb9c, v16
	v_sub_f16_e32 v23, v8, v14
	v_sub_f16_e32 v36, v18, v29
	;; [unrolled: 1-line block ×3, first 2 shown]
	v_fmac_f16_e32 v16, 0x3b9c, v17
	v_add_f16_e32 v43, v18, v30
	v_lshrrev_b32_e32 v44, 16, v4
	v_add_f16_e32 v11, v11, v19
	v_fmac_f16_e32 v21, 0xb8b4, v23
	v_add_f16_e32 v36, v36, v42
	v_fmac_f16_e32 v16, 0x38b4, v23
	v_fmac_f16_e32 v4, -0.5, v43
	v_sub_f16_e32 v42, v29, v18
	v_sub_f16_e32 v43, v19, v30
	v_fmac_f16_e32 v37, 0x34f2, v7
	v_fmac_f16_e32 v35, 0x34f2, v7
	v_add_f16_e32 v7, v11, v30
	v_fmac_f16_e32 v21, 0x34f2, v36
	v_fmac_f16_e32 v16, 0x34f2, v36
	v_add_f16_e32 v36, v8, v14
	v_sub_f16_e32 v18, v18, v30
	v_add_f16_e32 v30, v42, v43
	v_add_f16_e32 v42, v12, v15
	v_fmamk_f16 v11, v23, 0x3b9c, v4
	v_fmac_f16_e32 v4, 0xbb9c, v23
	v_add_f16_e32 v23, v44, v12
	v_fma_f16 v36, -0.5, v36, v44
	v_sub_f16_e32 v19, v29, v19
	v_fmac_f16_e32 v44, -0.5, v42
	v_fmac_f16_e32 v11, 0xb8b4, v17
	v_fmac_f16_e32 v4, 0x38b4, v17
	v_add_f16_e32 v17, v23, v8
	v_sub_f16_e32 v29, v12, v8
	v_fmamk_f16 v42, v19, 0xbb9c, v44
	v_sub_f16_e32 v8, v8, v12
	v_sub_f16_e32 v12, v14, v15
	v_fmac_f16_e32 v44, 0x3b9c, v19
	v_fmamk_f16 v23, v18, 0x3b9c, v36
	v_fmac_f16_e32 v11, 0x34f2, v30
	v_fmac_f16_e32 v4, 0x34f2, v30
	v_sub_f16_e32 v30, v15, v14
	v_fmac_f16_e32 v36, 0xbb9c, v18
	v_fmac_f16_e32 v42, 0x38b4, v18
	v_add_f16_e32 v8, v8, v12
	v_fmac_f16_e32 v44, 0xb8b4, v18
	v_add_f16_e32 v17, v17, v14
	;; [unrolled: 2-line block ×3, first 2 shown]
	v_fmac_f16_e32 v36, 0xb8b4, v19
	v_fmac_f16_e32 v42, 0x34f2, v8
	v_fmac_f16_e32 v44, 0x34f2, v8
	v_pack_b32_f16 v8, v31, v38
	v_fmac_f16_e32 v23, 0x34f2, v14
	v_fmac_f16_e32 v36, 0x34f2, v14
	v_pack_b32_f16 v14, v33, v40
	v_pack_b32_f16 v0, v0, v34
	v_add_f16_e32 v12, v17, v15
	v_pack_b32_f16 v15, v22, v32
	v_pack_b32_f16 v13, v13, v41
	ds_write_b32 v71, v8 offset:1512
	ds_write_b32 v71, v14 offset:3024
	;; [unrolled: 1-line block ×3, first 2 shown]
	v_pack_b32_f16 v0, v5, v10
	v_pack_b32_f16 v5, v6, v37
	;; [unrolled: 1-line block ×4, first 2 shown]
	ds_write_b32 v71, v13 offset:6048
	ds_write2_b32 v71, v15, v0 offset1:126
	ds_write_b32 v71, v5 offset:3528
	ds_write_b32 v71, v1 offset:5040
	;; [unrolled: 1-line block ×3, first 2 shown]
	v_pack_b32_f16 v1, v7, v12
	v_pack_b32_f16 v0, v39, v20
	;; [unrolled: 1-line block ×6, first 2 shown]
	ds_write_b32 v71, v1 offset:1008
	ds_write2_b32 v2, v0, v5 offset0:120 offset1:246
	ds_write_b32 v71, v6 offset:4032
	ds_write_b32 v71, v4 offset:5544
	;; [unrolled: 1-line block ×3, first 2 shown]
	s_waitcnt lgkmcnt(0)
	s_barrier
	buffer_gl0_inv
	ds_read2_b32 v[4:5], v71 offset1:126
	s_waitcnt lgkmcnt(0)
	v_lshrrev_b32_e32 v8, 16, v4
	v_mul_f16_sdwa v0, v86, v8 dst_sel:DWORD dst_unused:UNUSED_PAD src0_sel:WORD_1 src1_sel:DWORD
	v_fmac_f16_e32 v0, v86, v4
	v_mul_f16_sdwa v4, v86, v4 dst_sel:DWORD dst_unused:UNUSED_PAD src0_sel:WORD_1 src1_sel:DWORD
	v_cvt_f32_f16_e32 v0, v0
	v_cvt_f64_f32_e32 v[0:1], v0
	v_mul_f64 v[6:7], v[0:1], s[4:5]
	v_fma_f16 v0, v86, v8, -v4
	v_add_nc_u32_e32 v1, 0xb00, v71
	v_cvt_f32_f16_e32 v0, v0
	v_cvt_f64_f32_e32 v[8:9], v0
	v_and_or_b32 v0, 0x1ff, v7, v6
	v_lshrrev_b32_e32 v6, 8, v7
	v_bfe_u32 v10, v7, 20, 11
	v_cmp_ne_u32_e64 s0, 0, v0
	ds_read2_b32 v[0:1], v1 offset0:52 offset1:241
	v_add_nc_u32_e32 v16, 0xfffffc10, v10
	v_cndmask_b32_e64 v4, 0, 1, s0
	v_mul_f64 v[8:9], v[8:9], s[4:5]
	v_and_or_b32 v6, 0xffe, v6, v4
	v_sub_nc_u32_e32 v4, 0x3f1, v10
	v_or_b32_e32 v11, 0x1000, v6
	v_med3_i32 v4, v4, 0, 13
	v_lshrrev_b32_e32 v12, v4, v11
	s_waitcnt lgkmcnt(0)
	v_lshrrev_b32_e32 v14, 16, v1
	v_lshlrev_b32_e32 v4, v4, v12
	v_mul_f16_sdwa v13, v85, v14 dst_sel:DWORD dst_unused:UNUSED_PAD src0_sel:WORD_1 src1_sel:DWORD
	v_and_or_b32 v8, 0x1ff, v9, v8
	v_lshrrev_b32_e32 v10, 8, v9
	v_bfe_u32 v15, v9, 20, 11
	v_cmp_ne_u32_e64 s0, v4, v11
	v_fmac_f16_e32 v13, v85, v1
	v_mul_f16_sdwa v1, v85, v1 dst_sel:DWORD dst_unused:UNUSED_PAD src0_sel:WORD_1 src1_sel:DWORD
	v_cndmask_b32_e64 v4, 0, 1, s0
	v_cmp_ne_u32_e64 s0, 0, v8
	v_cvt_f32_f16_e32 v11, v13
	v_sub_nc_u32_e32 v13, 0x3f1, v15
	v_fma_f16 v1, v85, v14, -v1
	v_or_b32_e32 v4, v12, v4
	v_cndmask_b32_e64 v8, 0, 1, s0
	v_lshl_or_b32 v12, v16, 12, v6
	v_cmp_gt_i32_e64 s0, 1, v16
	v_med3_i32 v18, v13, 0, 13
	v_cvt_f32_f16_e32 v1, v1
	v_and_or_b32 v8, 0xffe, v10, v8
	v_cvt_f64_f32_e32 v[10:11], v11
	v_cndmask_b32_e64 v4, v12, v4, s0
	v_mad_u64_u32 v[12:13], null, s10, v28, 0
	v_or_b32_e32 v17, 0x1000, v8
	v_and_b32_e32 v19, 7, v4
	v_lshrrev_b32_e32 v20, v18, v17
	v_cmp_lt_i32_e64 s0, 5, v19
	v_cmp_eq_u32_e64 s1, 3, v19
	v_lshrrev_b32_e32 v19, 2, v4
	v_lshlrev_b32_e32 v18, v18, v20
	v_mov_b32_e32 v4, v13
	s_or_b32 s0, s1, s0
	v_add_co_ci_u32_e64 v13, s0, 0, v19, s0
	v_cmp_ne_u32_e64 s0, v18, v17
	v_mul_f64 v[10:11], v[10:11], s[4:5]
	v_add_nc_u32_e32 v18, 0xfffffc10, v15
	v_cndmask_b32_e64 v17, 0, 1, s0
	v_cmp_ne_u32_e64 s0, 0, v6
	v_or_b32_e32 v15, v20, v17
	v_cndmask_b32_e64 v6, 0, 1, s0
	v_cmp_gt_i32_e64 s0, 31, v16
	v_lshl_or_b32 v17, v18, 12, v8
	v_lshl_or_b32 v6, v6, 9, 0x7c00
	v_cndmask_b32_e64 v19, 0x7c00, v13, s0
	v_cmp_gt_i32_e64 s0, 1, v18
	v_mad_u64_u32 v[13:14], null, s11, v28, v[4:5]
	v_cndmask_b32_e64 v17, v17, v15, s0
	v_cvt_f64_f32_e32 v[14:15], v1
	v_and_or_b32 v1, 0x1ff, v11, v10
	v_cmp_eq_u32_e64 s0, 0x40f, v16
	v_lshrrev_b32_e32 v10, 8, v11
	v_and_b32_e32 v4, 7, v17
	v_cmp_ne_u32_e64 s2, 0, v1
	v_cndmask_b32_e64 v16, v19, v6, s0
	v_lshrrev_b32_e32 v19, 16, v7
	v_cmp_lt_i32_e64 s0, 5, v4
	v_cmp_eq_u32_e64 s1, 3, v4
	v_lshrrev_b32_e32 v4, 2, v17
	v_cndmask_b32_e64 v1, 0, 1, s2
	v_bfe_u32 v17, v11, 20, 11
	v_mad_u64_u32 v[6:7], null, s8, v84, 0
	s_or_b32 s0, s1, s0
	v_and_or_b32 v10, 0xffe, v10, v1
	v_add_co_ci_u32_e64 v4, s0, 0, v4, s0
	v_sub_nc_u32_e32 v20, 0x3f1, v17
	v_cmp_ne_u32_e64 s0, 0, v8
	v_mul_f64 v[14:15], v[14:15], s[4:5]
	v_mov_b32_e32 v1, v7
	v_or_b32_e32 v21, 0x1000, v10
	v_med3_i32 v20, v20, 0, 13
	v_cndmask_b32_e64 v8, 0, 1, s0
	v_cmp_gt_i32_e64 s0, 31, v18
	v_lshl_or_b32 v22, v8, 9, 0x7c00
	v_cndmask_b32_e64 v4, 0x7c00, v4, s0
	v_mad_u64_u32 v[7:8], null, s9, v84, v[1:2]
	v_lshrrev_b32_e32 v1, v20, v21
	v_cmp_eq_u32_e64 s0, 0x40f, v18
	v_lshrrev_b32_e32 v8, 16, v9
	v_and_or_b32 v9, 0x8000, v19, v16
	v_lshlrev_b32_e32 v16, v20, v1
	v_cndmask_b32_e64 v4, v4, v22, s0
	v_and_or_b32 v14, 0x1ff, v15, v14
	v_cmp_ne_u32_e64 s0, v16, v21
	v_and_or_b32 v4, 0x8000, v8, v4
	v_and_b32_e32 v8, 0xffff, v9
	v_add_nc_u32_e32 v16, 0xfffffc10, v17
	v_lshrrev_b32_e32 v17, 16, v5
	v_cndmask_b32_e64 v9, 0, 1, s0
	v_cmp_ne_u32_e64 s0, 0, v14
	v_lshl_or_b32 v18, v4, 16, v8
	v_lshl_or_b32 v4, v16, 12, v10
	v_mul_f16_sdwa v8, v83, v17 dst_sel:DWORD dst_unused:UNUSED_PAD src0_sel:WORD_1 src1_sel:DWORD
	v_or_b32_e32 v1, v1, v9
	v_cndmask_b32_e64 v9, 0, 1, s0
	v_cmp_gt_i32_e64 s0, 1, v16
	v_lshrrev_b32_e32 v14, 8, v15
	v_fmac_f16_e32 v8, v83, v5
	v_bfe_u32 v19, v15, 20, 11
	v_lshrrev_b32_e32 v15, 16, v15
	v_cndmask_b32_e64 v1, v4, v1, s0
	v_and_or_b32 v14, 0xffe, v14, v9
	v_cvt_f32_f16_e32 v20, v8
	v_lshlrev_b64 v[8:9], 2, v[12:13]
	v_sub_nc_u32_e32 v4, 0x3f1, v19
	v_and_b32_e32 v21, 7, v1
	v_or_b32_e32 v22, 0x1000, v14
	v_cvt_f64_f32_e32 v[12:13], v20
	v_lshrrev_b32_e32 v1, 2, v1
	v_add_co_u32 v20, s0, s6, v8
	v_med3_i32 v23, v4, 0, 13
	v_add_co_ci_u32_e64 v28, s0, s7, v9, s0
	v_cmp_lt_i32_e64 s0, 5, v21
	v_mul_f16_sdwa v8, v83, v5 dst_sel:DWORD dst_unused:UNUSED_PAD src0_sel:WORD_1 src1_sel:DWORD
	v_cmp_eq_u32_e64 s1, 3, v21
	v_lshrrev_b32_e32 v29, v23, v22
	v_lshlrev_b64 v[4:5], 2, v[6:7]
	s_mul_i32 s6, s8, 0x3b1
	v_fma_f16 v6, v83, v17, -v8
	s_or_b32 s0, s1, s0
	v_lshlrev_b32_e32 v7, v23, v29
	v_add_co_ci_u32_e64 v1, s0, 0, v1, s0
	v_cmp_ne_u32_e64 s0, 0, v10
	v_cvt_f32_f16_e32 v6, v6
	v_mul_f64 v[8:9], v[12:13], s[4:5]
	v_cndmask_b32_e64 v10, 0, 1, s0
	v_cmp_ne_u32_e64 s0, v7, v22
	v_cvt_f64_f32_e32 v[6:7], v6
	v_add_nc_u32_e32 v12, 0xfffffc10, v19
	v_lshl_or_b32 v10, v10, 9, 0x7c00
	v_cndmask_b32_e64 v17, 0, 1, s0
	v_cmp_gt_i32_e64 s0, 31, v16
	v_or_b32_e32 v13, v29, v17
	v_cndmask_b32_e64 v1, 0x7c00, v1, s0
	v_add_co_u32 v4, s0, v20, v4
	v_add_co_ci_u32_e64 v5, s0, v28, v5, s0
	v_lshl_or_b32 v17, v12, 12, v14
	v_cmp_gt_i32_e64 s0, 1, v12
	global_store_dword v[4:5], v18, off
	v_and_or_b32 v8, 0x1ff, v9, v8
	v_cndmask_b32_e64 v13, v17, v13, s0
	v_cmp_eq_u32_e64 s0, 0x40f, v16
	v_mul_f64 v[6:7], v[6:7], s[4:5]
	v_cmp_ne_u32_e64 s2, 0, v8
	v_bfe_u32 v17, v9, 20, 11
	v_and_b32_e32 v16, 7, v13
	v_cndmask_b32_e64 v1, v1, v10, s0
	v_lshrrev_b32_e32 v10, 16, v11
	v_add_nc_u32_e32 v11, 0x1000, v71
	v_lshrrev_b32_e32 v13, 2, v13
	v_cmp_lt_i32_e64 s0, 5, v16
	v_cmp_eq_u32_e64 s1, 3, v16
	v_and_or_b32 v1, 0x8000, v10, v1
	ds_read2_b32 v[10:11], v11 offset0:47 offset1:173
	v_cndmask_b32_e64 v8, 0, 1, s2
	v_lshrrev_b32_e32 v16, 8, v9
	s_or_b32 s0, s1, s0
	v_and_b32_e32 v1, 0xffff, v1
	v_add_co_ci_u32_e64 v13, s0, 0, v13, s0
	v_cmp_ne_u32_e64 s0, 0, v14
	v_and_or_b32 v8, 0xffe, v16, v8
	v_sub_nc_u32_e32 v16, 0x3f1, v17
	v_add_nc_u32_e32 v17, 0xfffffc10, v17
	v_and_or_b32 v6, 0x1ff, v7, v6
	v_cndmask_b32_e64 v14, 0, 1, s0
	v_cmp_gt_i32_e64 s0, 31, v12
	v_or_b32_e32 v18, 0x1000, v8
	v_med3_i32 v16, v16, 0, 13
	v_lshrrev_b32_e32 v20, 8, v7
	v_lshl_or_b32 v14, v14, 9, 0x7c00
	v_cndmask_b32_e64 v13, 0x7c00, v13, s0
	v_cmp_eq_u32_e64 s0, 0x40f, v12
	s_waitcnt lgkmcnt(0)
	v_lshrrev_b32_e32 v19, 16, v10
	v_bfe_u32 v21, v7, 20, 11
	s_mul_i32 s1, s9, 0x3b1
	s_mul_hi_u32 s2, s8, 0x3b1
	v_cndmask_b32_e64 v12, v13, v14, s0
	v_lshrrev_b32_e32 v14, v16, v18
	v_cmp_ne_u32_e64 s0, 0, v6
	v_mul_f16_sdwa v13, v82, v19 dst_sel:DWORD dst_unused:UNUSED_PAD src0_sel:WORD_1 src1_sel:DWORD
	s_add_i32 s7, s2, s1
	v_and_or_b32 v15, 0x8000, v15, v12
	v_lshlrev_b32_e32 v16, v16, v14
	v_cndmask_b32_e64 v6, 0, 1, s0
	v_fmac_f16_e32 v13, v82, v10
	v_mul_f16_sdwa v10, v82, v10 dst_sel:DWORD dst_unused:UNUSED_PAD src0_sel:WORD_1 src1_sel:DWORD
	v_lshl_or_b32 v1, v15, 16, v1
	v_cmp_ne_u32_e64 s0, v16, v18
	v_and_or_b32 v6, 0xffe, v20, v6
	v_sub_nc_u32_e32 v20, 0x3f1, v21
	v_cvt_f32_f16_e32 v13, v13
	v_fma_f16 v10, v82, v19, -v10
	v_cndmask_b32_e64 v16, 0, 1, s0
	v_or_b32_e32 v18, 0x1000, v6
	v_med3_i32 v20, v20, 0, 13
	v_cvt_f64_f32_e32 v[12:13], v13
	v_cmp_gt_i32_e64 s0, 1, v17
	v_or_b32_e32 v14, v14, v16
	v_lshl_or_b32 v16, v17, 12, v8
	v_lshrrev_b32_e32 v22, v20, v18
	v_cvt_f32_f16_e32 v10, v10
	v_lshrrev_b32_e32 v9, 16, v9
	v_lshrrev_b32_e32 v7, 16, v7
	v_cndmask_b32_e64 v14, v16, v14, s0
	v_lshlrev_b32_e32 v16, v20, v22
	s_lshl_b64 s[6:7], s[6:7], 2
	v_and_b32_e32 v20, 7, v14
	v_cmp_ne_u32_e64 s0, v16, v18
	v_add_nc_u32_e32 v18, 0xfffffc10, v21
	v_lshrrev_b32_e32 v14, 2, v14
	v_cmp_eq_u32_e64 s1, 3, v20
	v_cndmask_b32_e64 v16, 0, 1, s0
	v_cmp_lt_i32_e64 s0, 5, v20
	v_cmp_gt_i32_e64 s2, 1, v18
	v_mul_f64 v[12:13], v[12:13], s[4:5]
	v_or_b32_e32 v15, v22, v16
	v_lshl_or_b32 v16, v18, 12, v6
	s_or_b32 s0, s1, s0
	v_add_co_ci_u32_e64 v19, s0, 0, v14, s0
	v_cndmask_b32_e64 v16, v16, v15, s2
	v_cvt_f64_f32_e32 v[14:15], v10
	v_cmp_ne_u32_e64 s0, 0, v8
	v_cmp_eq_u32_e64 s2, 0x40f, v17
	v_and_b32_e32 v10, 7, v16
	v_cndmask_b32_e64 v8, 0, 1, s0
	v_cmp_gt_i32_e64 s0, 31, v17
	v_cmp_eq_u32_e64 s1, 3, v10
	v_lshl_or_b32 v8, v8, 9, 0x7c00
	v_cndmask_b32_e64 v19, 0x7c00, v19, s0
	v_cmp_lt_i32_e64 s0, 5, v10
	v_lshrrev_b32_e32 v10, 2, v16
	v_and_or_b32 v12, 0x1ff, v13, v12
	ds_read2_b32 v[16:17], v3 offset0:124 offset1:250
	v_cndmask_b32_e64 v8, v19, v8, s2
	s_or_b32 s0, s1, s0
	v_lshrrev_b32_e32 v19, 8, v13
	v_add_co_ci_u32_e64 v10, s0, 0, v10, s0
	v_cmp_ne_u32_e64 s0, 0, v6
	v_mul_f64 v[14:15], v[14:15], s[4:5]
	v_bfe_u32 v20, v13, 20, 11
	v_and_or_b32 v8, 0x8000, v9, v8
	s_mul_i32 s1, s9, 0xfffffccd
	v_cndmask_b32_e64 v6, 0, 1, s0
	v_cmp_ne_u32_e64 s0, 0, v12
	v_lshrrev_b32_e32 v13, 16, v13
	v_and_b32_e32 v8, 0xffff, v8
	v_lshl_or_b32 v6, v6, 9, 0x7c00
	v_cndmask_b32_e64 v12, 0, 1, s0
	v_cmp_gt_i32_e64 s0, 31, v18
	s_waitcnt lgkmcnt(0)
	v_lshrrev_b32_e32 v9, 16, v16
	v_and_or_b32 v12, 0xffe, v19, v12
	v_cndmask_b32_e64 v3, 0x7c00, v10, s0
	v_sub_nc_u32_e32 v10, 0x3f1, v20
	v_cmp_eq_u32_e64 s0, 0x40f, v18
	v_or_b32_e32 v18, 0x1000, v12
	v_med3_i32 v10, v10, 0, 13
	v_cndmask_b32_e64 v6, v3, v6, s0
	v_add_co_u32 v3, s0, v4, s6
	v_add_co_ci_u32_e64 v4, s0, s7, v5, s0
	v_and_or_b32 v7, 0x8000, v7, v6
	v_lshrrev_b32_e32 v5, v10, v18
	v_and_or_b32 v6, 0x1ff, v15, v14
	s_mul_hi_u32 s0, s8, 0xfffffccd
	v_mul_f16_sdwa v14, v81, v9 dst_sel:DWORD dst_unused:UNUSED_PAD src0_sel:WORD_1 src1_sel:DWORD
	s_sub_i32 s2, s0, s8
	v_lshlrev_b32_e32 v10, v10, v5
	v_cmp_ne_u32_e64 s0, 0, v6
	v_lshrrev_b32_e32 v19, 8, v15
	v_bfe_u32 v21, v15, 20, 11
	v_fmac_f16_e32 v14, v81, v16
	v_mul_f16_sdwa v16, v81, v16 dst_sel:DWORD dst_unused:UNUSED_PAD src0_sel:WORD_1 src1_sel:DWORD
	v_cndmask_b32_e64 v6, 0, 1, s0
	v_cmp_ne_u32_e64 s0, v10, v18
	v_add_nc_u32_e32 v18, 0xfffffc10, v20
	v_cvt_f32_f16_e32 v14, v14
	v_fma_f16 v9, v81, v9, -v16
	v_and_or_b32 v19, 0xffe, v19, v6
	v_cndmask_b32_e64 v10, 0, 1, s0
	v_sub_nc_u32_e32 v6, 0x3f1, v21
	v_lshl_or_b32 v20, v18, 12, v12
	v_cmp_gt_i32_e64 s0, 1, v18
	v_or_b32_e32 v22, 0x1000, v19
	v_or_b32_e32 v10, v5, v10
	v_med3_i32 v23, v6, 0, 13
	v_cvt_f64_f32_e32 v[5:6], v14
	s_add_i32 s1, s2, s1
	v_cvt_f32_f16_e32 v9, v9
	v_cndmask_b32_e64 v10, v20, v10, s0
	v_lshrrev_b32_e32 v14, v23, v22
	s_mul_i32 s0, s8, 0xfffffccd
	v_lshl_or_b32 v20, v7, 16, v8
	s_lshl_b64 s[8:9], s[0:1], 2
	v_and_b32_e32 v28, 7, v10
	v_lshlrev_b32_e32 v23, v23, v14
	v_add_co_u32 v7, s0, v3, s8
	v_add_co_ci_u32_e64 v8, s0, s9, v4, s0
	v_cmp_ne_u32_e64 s1, v23, v22
	v_cmp_lt_i32_e64 s0, 5, v28
	v_lshrrev_b32_e32 v22, 2, v10
	v_cvt_f64_f32_e32 v[9:10], v9
	v_add_nc_u32_e32 v21, 0xfffffc10, v21
	v_cndmask_b32_e64 v16, 0, 1, s1
	v_cmp_eq_u32_e64 s1, 3, v28
	global_store_dword v[3:4], v1, off
	global_store_dword v[7:8], v20, off
	v_mul_f64 v[5:6], v[5:6], s[4:5]
	v_lshrrev_b32_e32 v15, 16, v15
	v_or_b32_e32 v14, v14, v16
	s_or_b32 s0, s1, s0
	v_lshl_or_b32 v16, v21, 12, v19
	v_add_co_ci_u32_e64 v22, s0, 0, v22, s0
	v_cmp_ne_u32_e64 s0, 0, v12
	v_cndmask_b32_e64 v12, 0, 1, s0
	v_cmp_gt_i32_e64 s0, 1, v21
	v_lshl_or_b32 v12, v12, 9, 0x7c00
	v_cndmask_b32_e64 v14, v16, v14, s0
	v_cmp_gt_i32_e64 s0, 31, v18
	v_mul_f64 v[3:4], v[9:10], s[4:5]
	v_and_or_b32 v5, 0x1ff, v6, v5
	v_and_b32_e32 v1, 7, v14
	v_cndmask_b32_e64 v16, 0x7c00, v22, s0
	v_cmp_eq_u32_e64 s0, 0x40f, v18
	v_lshrrev_b32_e32 v9, 8, v6
	v_cmp_ne_u32_e64 s2, 0, v5
	v_cmp_eq_u32_e64 s1, 3, v1
	v_cndmask_b32_e64 v12, v16, v12, s0
	v_cmp_lt_i32_e64 s0, 5, v1
	v_lshrrev_b32_e32 v1, 2, v14
	v_cndmask_b32_e64 v5, 0, 1, s2
	v_bfe_u32 v14, v6, 20, 11
	v_lshrrev_b32_e32 v16, 16, v11
	s_or_b32 s0, s1, s0
	v_and_or_b32 v12, 0x8000, v13, v12
	v_add_co_ci_u32_e64 v1, s0, 0, v1, s0
	v_and_or_b32 v5, 0xffe, v9, v5
	v_sub_nc_u32_e32 v9, 0x3f1, v14
	v_cmp_ne_u32_e64 s0, 0, v19
	v_and_or_b32 v3, 0x1ff, v4, v3
	v_mul_f16_sdwa v10, v80, v16 dst_sel:DWORD dst_unused:UNUSED_PAD src0_sel:WORD_1 src1_sel:DWORD
	v_or_b32_e32 v19, 0x1000, v5
	v_med3_i32 v9, v9, 0, 13
	v_cndmask_b32_e64 v18, 0, 1, s0
	v_cmp_gt_i32_e64 s0, 31, v21
	v_fmac_f16_e32 v10, v80, v11
	v_add_nc_u32_e32 v14, 0xfffffc10, v14
	v_lshrrev_b32_e32 v20, v9, v19
	v_lshl_or_b32 v18, v18, 9, 0x7c00
	v_cndmask_b32_e64 v1, 0x7c00, v1, s0
	v_cmp_eq_u32_e64 s0, 0x40f, v21
	v_cvt_f32_f16_e32 v10, v10
	v_lshrrev_b32_e32 v21, 8, v4
	v_bfe_u32 v22, v4, 20, 11
	v_mul_f16_sdwa v11, v80, v11 dst_sel:DWORD dst_unused:UNUSED_PAD src0_sel:WORD_1 src1_sel:DWORD
	v_cndmask_b32_e64 v1, v1, v18, s0
	v_lshlrev_b32_e32 v18, v9, v20
	v_cmp_ne_u32_e64 s0, 0, v3
	v_cvt_f64_f32_e32 v[9:10], v10
	v_fma_f16 v11, v80, v16, -v11
	v_and_or_b32 v1, 0x8000, v15, v1
	v_and_b32_e32 v16, 0xffff, v12
	v_cndmask_b32_e64 v3, 0, 1, s0
	v_cmp_ne_u32_e64 s0, v18, v19
	v_sub_nc_u32_e32 v19, 0x3f1, v22
	v_cvt_f32_f16_e32 v11, v11
	v_lshrrev_b32_e32 v4, 16, v4
	v_and_or_b32 v3, 0xffe, v21, v3
	v_cndmask_b32_e64 v18, 0, 1, s0
	v_cmp_gt_i32_e64 s0, 1, v14
	v_med3_i32 v19, v19, 0, 13
	v_cvt_f64_f32_e32 v[11:12], v11
	v_or_b32_e32 v21, 0x1000, v3
	v_or_b32_e32 v18, v20, v18
	v_lshl_or_b32 v20, v14, 12, v5
	v_lshrrev_b32_e32 v13, v19, v21
	v_cndmask_b32_e64 v18, v20, v18, s0
	v_mul_f64 v[9:10], v[9:10], s[4:5]
	v_lshlrev_b32_e32 v19, v19, v13
	v_and_b32_e32 v15, 7, v18
	v_cmp_ne_u32_e64 s2, v19, v21
	v_add_nc_u32_e32 v19, 0xfffffc10, v22
	v_cmp_lt_i32_e64 s0, 5, v15
	v_cmp_eq_u32_e64 s1, 3, v15
	v_lshrrev_b32_e32 v15, 2, v18
	v_cndmask_b32_e64 v18, 0, 1, s2
	s_or_b32 s0, s1, s0
	v_add_co_ci_u32_e64 v15, s0, 0, v15, s0
	v_cmp_ne_u32_e64 s0, 0, v5
	v_or_b32_e32 v13, v13, v18
	v_lshl_or_b32 v18, v19, 12, v3
	v_and_or_b32 v9, 0x1ff, v10, v9
	v_bfe_u32 v20, v10, 20, 11
	v_cndmask_b32_e64 v5, 0, 1, s0
	v_cmp_gt_i32_e64 s0, 31, v14
	v_lshl_or_b32 v5, v5, 9, 0x7c00
	v_cndmask_b32_e64 v15, 0x7c00, v15, s0
	v_cmp_gt_i32_e64 s0, 1, v19
	v_cndmask_b32_e64 v13, v18, v13, s0
	v_cmp_eq_u32_e64 s0, 0x40f, v14
	v_and_b32_e32 v18, 7, v13
	v_cndmask_b32_e64 v14, v15, v5, s0
	v_lshrrev_b32_e32 v15, 16, v6
	v_mul_f64 v[5:6], v[11:12], s[4:5]
	v_cmp_ne_u32_e64 s0, 0, v9
	v_lshrrev_b32_e32 v11, 8, v10
	v_cmp_eq_u32_e64 s1, 3, v18
	v_lshrrev_b32_e32 v12, 2, v13
	v_lshrrev_b32_e32 v13, 16, v17
	v_cndmask_b32_e64 v9, 0, 1, s0
	v_cmp_lt_i32_e64 s0, 5, v18
	v_and_or_b32 v14, 0x8000, v15, v14
	v_mul_f16_sdwa v21, v79, v13 dst_sel:DWORD dst_unused:UNUSED_PAD src0_sel:WORD_1 src1_sel:DWORD
	v_and_or_b32 v9, 0xffe, v11, v9
	v_sub_nc_u32_e32 v11, 0x3f1, v20
	s_or_b32 s0, s1, s0
	v_add_nc_u32_e32 v20, 0xfffffc10, v20
	v_add_co_ci_u32_e64 v12, s0, 0, v12, s0
	v_or_b32_e32 v18, 0x1000, v9
	v_med3_i32 v11, v11, 0, 13
	v_cmp_gt_i32_e64 s0, 31, v19
	v_fmac_f16_e32 v21, v79, v17
	v_and_b32_e32 v14, 0xffff, v14
	v_and_or_b32 v5, 0x1ff, v6, v5
	v_lshrrev_b32_e32 v22, v11, v18
	v_cndmask_b32_e64 v15, 0x7c00, v12, s0
	v_cmp_ne_u32_e64 s0, 0, v3
	v_bfe_u32 v28, v6, 20, 11
	v_lshlrev_b32_e32 v23, v11, v22
	v_cvt_f32_f16_e32 v11, v21
	v_cndmask_b32_e64 v3, 0, 1, s0
	v_cmp_ne_u32_e64 s0, 0, v5
	v_lshrrev_b32_e32 v21, 8, v6
	v_lshrrev_b32_e32 v6, 16, v6
	v_cvt_f64_f32_e32 v[11:12], v11
	v_lshl_or_b32 v3, v3, 9, 0x7c00
	v_cndmask_b32_e64 v5, 0, 1, s0
	v_cmp_ne_u32_e64 s0, v23, v18
	v_and_or_b32 v5, 0xffe, v21, v5
	v_cndmask_b32_e64 v18, 0, 1, s0
	v_sub_nc_u32_e32 v21, 0x3f1, v28
	v_cmp_eq_u32_e64 s0, 0x40f, v19
	v_lshl_or_b32 v19, v1, 16, v16
	v_or_b32_e32 v23, 0x1000, v5
	v_or_b32_e32 v18, v22, v18
	v_lshl_or_b32 v22, v20, 12, v9
	v_med3_i32 v21, v21, 0, 13
	v_cndmask_b32_e64 v3, v15, v3, s0
	v_cmp_gt_i32_e64 s0, 1, v20
	v_and_or_b32 v1, 0x8000, v4, v3
	v_cndmask_b32_e64 v15, v22, v18, s0
	v_lshrrev_b32_e32 v18, v21, v23
	v_mul_f64 v[3:4], v[11:12], s[4:5]
	v_mul_f16_sdwa v11, v79, v17 dst_sel:DWORD dst_unused:UNUSED_PAD src0_sel:WORD_1 src1_sel:DWORD
	v_add_co_u32 v7, s0, v7, s6
	v_lshlrev_b32_e32 v21, v21, v18
	v_and_b32_e32 v16, 7, v15
	v_lshl_or_b32 v17, v1, 16, v14
	v_fma_f16 v1, v79, v13, -v11
	v_add_co_ci_u32_e64 v8, s0, s7, v8, s0
	v_cmp_ne_u32_e64 s1, v21, v23
	v_cmp_lt_i32_e64 s0, 5, v16
	v_cvt_f32_f16_e32 v1, v1
	v_lshrrev_b32_e32 v13, 2, v15
	v_add_nc_u32_e32 v21, 0xfffffc10, v28
	v_cndmask_b32_e64 v11, 0, 1, s1
	v_cmp_eq_u32_e64 s1, 3, v16
	v_lshrrev_b32_e32 v22, 16, v10
	global_store_dword v[7:8], v19, off
	v_lshl_or_b32 v15, v21, 12, v5
	v_or_b32_e32 v14, v18, v11
	s_or_b32 s0, s1, s0
	v_cvt_f64_f32_e32 v[11:12], v1
	v_add_co_ci_u32_e64 v1, s0, 0, v13, s0
	v_cmp_ne_u32_e64 s0, 0, v9
	v_and_or_b32 v3, 0x1ff, v4, v3
	v_lshrrev_b32_e32 v13, 8, v4
	v_bfe_u32 v18, v4, 20, 11
	v_lshrrev_b32_e32 v4, 16, v4
	v_cndmask_b32_e64 v9, 0, 1, s0
	v_cmp_gt_i32_e64 s0, 1, v21
	v_lshl_or_b32 v9, v9, 9, 0x7c00
	v_cndmask_b32_e64 v15, v15, v14, s0
	v_cmp_gt_i32_e64 s0, 31, v20
	v_add_nc_u32_e32 v14, 0x1400, v71
	v_and_b32_e32 v16, 7, v15
	v_cndmask_b32_e64 v1, 0x7c00, v1, s0
	v_cmp_ne_u32_e64 s0, 0, v3
	v_mul_f64 v[11:12], v[11:12], s[4:5]
	v_lshrrev_b32_e32 v15, 2, v15
	v_cmp_eq_u32_e64 s1, 3, v16
	v_cndmask_b32_e64 v3, 0, 1, s0
	v_cmp_eq_u32_e64 s0, 0x40f, v20
	v_and_or_b32 v3, 0xffe, v13, v3
	v_cndmask_b32_e64 v1, v1, v9, s0
	v_sub_nc_u32_e32 v9, 0x3f1, v18
	v_cmp_lt_i32_e64 s0, 5, v16
	ds_read2_b32 v[13:14], v14 offset0:43 offset1:169
	v_or_b32_e32 v16, 0x1000, v3
	v_and_or_b32 v1, 0x8000, v22, v1
	v_med3_i32 v20, v9, 0, 13
	s_or_b32 s0, s1, s0
	v_add_nc_u32_e32 v18, 0xfffffc10, v18
	v_add_co_ci_u32_e64 v15, s0, 0, v15, s0
	v_lshrrev_b32_e32 v23, v20, v16
	v_add_co_u32 v9, s0, v7, s8
	v_add_co_ci_u32_e64 v10, s0, s9, v8, s0
	v_lshlrev_b32_e32 v20, v20, v23
	v_cmp_gt_i32_e64 s0, 31, v21
	v_and_or_b32 v11, 0x1ff, v12, v11
	v_bfe_u32 v29, v12, 20, 11
	global_store_dword v[9:10], v17, off
	v_cndmask_b32_e64 v22, 0x7c00, v15, s0
	v_cmp_ne_u32_e64 s0, v20, v16
	s_waitcnt lgkmcnt(0)
	v_lshrrev_b32_e32 v28, 16, v13
	v_lshl_or_b32 v20, v18, 12, v3
	v_cndmask_b32_e64 v15, 0, 1, s0
	v_cmp_ne_u32_e64 s0, 0, v5
	v_mul_f16_sdwa v16, v78, v28 dst_sel:DWORD dst_unused:UNUSED_PAD src0_sel:WORD_1 src1_sel:DWORD
	v_or_b32_e32 v15, v23, v15
	v_cndmask_b32_e64 v5, 0, 1, s0
	v_cmp_ne_u32_e64 s0, 0, v11
	v_lshrrev_b32_e32 v23, 8, v12
	v_fmac_f16_e32 v16, v78, v13
	v_mul_f16_sdwa v13, v78, v13 dst_sel:DWORD dst_unused:UNUSED_PAD src0_sel:WORD_1 src1_sel:DWORD
	v_lshl_or_b32 v5, v5, 9, 0x7c00
	v_cndmask_b32_e64 v11, 0, 1, s0
	v_cmp_gt_i32_e64 s0, 1, v18
	v_cvt_f32_f16_e32 v16, v16
	v_lshrrev_b32_e32 v12, 16, v12
	v_and_or_b32 v11, 0xffe, v23, v11
	v_sub_nc_u32_e32 v23, 0x3f1, v29
	v_cndmask_b32_e64 v20, v20, v15, s0
	v_cmp_eq_u32_e64 s0, 0x40f, v21
	v_cvt_f64_f32_e32 v[15:16], v16
	v_or_b32_e32 v31, 0x1000, v11
	v_med3_i32 v23, v23, 0, 13
	v_and_b32_e32 v30, 7, v20
	v_cndmask_b32_e64 v5, v22, v5, s0
	v_lshrrev_b32_e32 v21, v23, v31
	v_cmp_lt_i32_e64 s0, 5, v30
	v_cmp_eq_u32_e64 s1, 3, v30
	v_and_or_b32 v22, 0x8000, v6, v5
	v_lshrrev_b32_e32 v5, 2, v20
	v_fma_f16 v6, v78, v28, -v13
	v_lshlrev_b32_e32 v13, v23, v21
	s_or_b32 s0, s1, s0
	v_add_nc_u32_e32 v28, 0xfffffc10, v29
	v_add_co_ci_u32_e64 v20, s0, 0, v5, s0
	v_cmp_ne_u32_e64 s0, v13, v31
	v_cvt_f32_f16_e32 v23, v6
	v_mul_f64 v[5:6], v[15:16], s[4:5]
	v_cndmask_b32_e64 v13, 0, 1, s0
	v_cmp_ne_u32_e64 s0, 0, v3
	v_cvt_f64_f32_e32 v[15:16], v23
	v_and_b32_e32 v23, 0xffff, v1
	ds_read2_b32 v[1:2], v2 offset0:120 offset1:246
	v_or_b32_e32 v13, v21, v13
	v_cndmask_b32_e64 v3, 0, 1, s0
	v_cmp_gt_i32_e64 s0, 31, v18
	v_lshl_or_b32 v21, v28, 12, v11
	v_lshl_or_b32 v17, v22, 16, v23
	;; [unrolled: 1-line block ×3, first 2 shown]
	v_cndmask_b32_e64 v20, 0x7c00, v20, s0
	v_cmp_gt_i32_e64 s0, 1, v28
	v_cndmask_b32_e64 v13, v21, v13, s0
	v_cmp_eq_u32_e64 s0, 0x40f, v18
	v_and_or_b32 v5, 0x1ff, v6, v5
	v_lshrrev_b32_e32 v8, 8, v6
	v_and_b32_e32 v7, 7, v13
	v_cndmask_b32_e64 v3, v20, v3, s0
	v_cmp_ne_u32_e64 s2, 0, v5
	v_cmp_lt_i32_e64 s0, 5, v7
	v_and_or_b32 v18, 0x8000, v4, v3
	v_mul_f64 v[3:4], v[15:16], s[4:5]
	v_cmp_eq_u32_e64 s1, 3, v7
	v_lshrrev_b32_e32 v7, 2, v13
	v_cndmask_b32_e64 v5, 0, 1, s2
	v_bfe_u32 v13, v6, 20, 11
	s_waitcnt lgkmcnt(0)
	v_lshrrev_b32_e32 v15, 16, v1
	s_or_b32 s0, s1, s0
	v_add_co_ci_u32_e64 v7, s0, 0, v7, s0
	v_cmp_ne_u32_e64 s0, 0, v11
	v_and_or_b32 v5, 0xffe, v8, v5
	v_sub_nc_u32_e32 v8, 0x3f1, v13
	v_mul_f16_sdwa v19, v77, v15 dst_sel:DWORD dst_unused:UNUSED_PAD src0_sel:WORD_1 src1_sel:DWORD
	v_add_nc_u32_e32 v13, 0xfffffc10, v13
	v_cndmask_b32_e64 v11, 0, 1, s0
	v_cmp_gt_i32_e64 s0, 31, v28
	v_or_b32_e32 v16, 0x1000, v5
	v_med3_i32 v8, v8, 0, 13
	v_fmac_f16_e32 v19, v77, v1
	v_lshl_or_b32 v11, v11, 9, 0x7c00
	v_cndmask_b32_e64 v7, 0x7c00, v7, s0
	v_and_or_b32 v3, 0x1ff, v4, v3
	v_cmp_eq_u32_e64 s0, 0x40f, v28
	v_lshrrev_b32_e32 v20, v8, v16
	v_bfe_u32 v22, v4, 20, 11
	v_mul_f16_sdwa v1, v77, v1 dst_sel:DWORD dst_unused:UNUSED_PAD src0_sel:WORD_1 src1_sel:DWORD
	v_cndmask_b32_e64 v11, v7, v11, s0
	v_cmp_ne_u32_e64 s0, 0, v3
	v_cvt_f32_f16_e32 v7, v19
	v_lshlrev_b32_e32 v21, v8, v20
	v_lshrrev_b32_e32 v19, 8, v4
	v_and_or_b32 v11, 0x8000, v12, v11
	v_cndmask_b32_e64 v3, 0, 1, s0
	v_cvt_f64_f32_e32 v[7:8], v7
	v_cmp_ne_u32_e64 s0, v21, v16
	v_and_b32_e32 v12, 0xffff, v18
	v_fma_f16 v1, v77, v15, -v1
	v_and_or_b32 v3, 0xffe, v19, v3
	v_sub_nc_u32_e32 v19, 0x3f1, v22
	v_cndmask_b32_e64 v16, 0, 1, s0
	v_cmp_gt_i32_e64 s0, 1, v13
	v_cvt_f32_f16_e32 v1, v1
	v_or_b32_e32 v21, 0x1000, v3
	v_med3_i32 v19, v19, 0, 13
	v_or_b32_e32 v16, v20, v16
	v_lshl_or_b32 v20, v13, 12, v5
	v_lshrrev_b32_e32 v18, v19, v21
	v_cndmask_b32_e64 v16, v20, v16, s0
	v_add_co_u32 v9, s0, v9, s6
	v_lshlrev_b32_e32 v19, v19, v18
	v_add_co_ci_u32_e64 v10, s0, s7, v10, s0
	v_and_b32_e32 v23, 7, v16
	v_mul_f64 v[7:8], v[7:8], s[4:5]
	v_cmp_ne_u32_e64 s1, v19, v21
	v_lshl_or_b32 v20, v11, 16, v12
	v_add_co_u32 v11, s0, v9, s8
	v_add_co_ci_u32_e64 v12, s0, s9, v10, s0
	v_cmp_lt_i32_e64 s0, 5, v23
	v_cndmask_b32_e64 v15, 0, 1, s1
	v_cmp_eq_u32_e64 s1, 3, v23
	v_lshrrev_b32_e32 v21, 2, v16
	v_add_nc_u32_e32 v19, 0xfffffc10, v22
	global_store_dword v[9:10], v17, off
	global_store_dword v[11:12], v20, off
	v_or_b32_e32 v18, v18, v15
	s_or_b32 s0, s1, s0
	v_cvt_f64_f32_e32 v[15:16], v1
	v_add_co_ci_u32_e64 v1, s0, 0, v21, s0
	v_cmp_ne_u32_e64 s0, 0, v5
	v_lshl_or_b32 v22, v19, 12, v3
	v_and_or_b32 v7, 0x1ff, v8, v7
	v_cndmask_b32_e64 v5, 0, 1, s0
	v_cmp_gt_i32_e64 s0, 1, v19
	v_bfe_u32 v23, v8, 20, 11
	v_lshl_or_b32 v5, v5, 9, 0x7c00
	v_cndmask_b32_e64 v18, v22, v18, s0
	v_cmp_gt_i32_e64 s0, 31, v13
	v_lshrrev_b32_e32 v22, 8, v8
	v_and_b32_e32 v21, 7, v18
	v_cndmask_b32_e64 v1, 0x7c00, v1, s0
	v_cmp_ne_u32_e64 s0, 0, v7
	v_cmp_eq_u32_e64 s1, 3, v21
	v_cndmask_b32_e64 v7, 0, 1, s0
	v_cmp_eq_u32_e64 s0, 0x40f, v13
	v_lshrrev_b32_e32 v13, 16, v6
	v_and_or_b32 v7, 0xffe, v22, v7
	v_cndmask_b32_e64 v1, v1, v5, s0
	v_cmp_lt_i32_e64 s0, 5, v21
	v_mul_f64 v[5:6], v[15:16], s[4:5]
	v_lshrrev_b32_e32 v16, 2, v18
	v_sub_nc_u32_e32 v22, 0x3f1, v23
	v_or_b32_e32 v18, 0x1000, v7
	s_or_b32 s0, s1, s0
	v_lshrrev_b32_e32 v15, 16, v14
	v_add_co_ci_u32_e64 v16, s0, 0, v16, s0
	v_med3_i32 v21, v22, 0, 13
	v_cmp_ne_u32_e64 s0, 0, v3
	v_mul_f16_sdwa v22, v76, v15 dst_sel:DWORD dst_unused:UNUSED_PAD src0_sel:WORD_1 src1_sel:DWORD
	v_and_or_b32 v1, 0x8000, v13, v1
	v_lshrrev_b32_e32 v28, v21, v18
	v_cndmask_b32_e64 v3, 0, 1, s0
	v_cmp_gt_i32_e64 s0, 31, v19
	v_fmac_f16_e32 v22, v76, v14
	v_and_b32_e32 v1, 0xffff, v1
	v_lshlrev_b32_e32 v13, v21, v28
	v_lshl_or_b32 v3, v3, 9, 0x7c00
	v_cndmask_b32_e64 v16, 0x7c00, v16, s0
	v_cmp_eq_u32_e64 s0, 0x40f, v19
	v_and_or_b32 v5, 0x1ff, v6, v5
	v_cvt_f32_f16_e32 v21, v22
	v_lshrrev_b32_e32 v19, 16, v4
	v_bfe_u32 v22, v6, 20, 11
	v_cndmask_b32_e64 v16, v16, v3, s0
	v_cmp_ne_u32_e64 s0, v13, v18
	v_cvt_f64_f32_e32 v[3:4], v21
	v_add_nc_u32_e32 v18, 0xfffffc10, v23
	v_lshrrev_b32_e32 v21, 8, v6
	v_and_or_b32 v16, 0x8000, v19, v16
	v_cndmask_b32_e64 v13, 0, 1, s0
	v_cmp_ne_u32_e64 s0, 0, v5
	v_lshl_or_b32 v19, v18, 12, v7
	v_lshrrev_b32_e32 v6, 16, v6
	v_lshl_or_b32 v1, v16, 16, v1
	v_or_b32_e32 v13, v28, v13
	v_cndmask_b32_e64 v5, 0, 1, s0
	v_cmp_gt_i32_e64 s0, 1, v18
	v_and_or_b32 v5, 0xffe, v21, v5
	v_sub_nc_u32_e32 v21, 0x3f1, v22
	v_cndmask_b32_e64 v13, v19, v13, s0
	v_add_co_u32 v9, s0, v11, s6
	v_or_b32_e32 v19, 0x1000, v5
	v_med3_i32 v21, v21, 0, 13
	v_and_b32_e32 v16, 7, v13
	v_mul_f64 v[3:4], v[3:4], s[4:5]
	v_add_co_ci_u32_e64 v10, s0, s7, v12, s0
	v_lshrrev_b32_e32 v17, v21, v19
	v_cmp_lt_i32_e64 s0, 5, v16
	v_cmp_eq_u32_e64 s1, 3, v16
	v_mul_f16_sdwa v12, v76, v14 dst_sel:DWORD dst_unused:UNUSED_PAD src0_sel:WORD_1 src1_sel:DWORD
	v_lshrrev_b32_e32 v13, 2, v13
	v_lshlrev_b32_e32 v11, v21, v17
	v_add_nc_u32_e32 v14, 0xfffffc10, v22
	s_or_b32 s0, s1, s0
	v_fma_f16 v12, v76, v15, -v12
	v_add_co_ci_u32_e64 v13, s0, 0, v13, s0
	v_cmp_ne_u32_e64 s2, v11, v19
	v_cmp_ne_u32_e64 s0, 0, v7
	v_cvt_f32_f16_e32 v12, v12
	v_lshl_or_b32 v16, v14, 12, v5
	global_store_dword v[9:10], v1, off
	v_cndmask_b32_e64 v11, 0, 1, s2
	v_cndmask_b32_e64 v7, 0, 1, s0
	v_cmp_gt_i32_e64 s0, 1, v14
	v_and_or_b32 v3, 0x1ff, v4, v3
	v_bfe_u32 v19, v4, 20, 11
	v_or_b32_e32 v15, v17, v11
	v_cvt_f64_f32_e32 v[11:12], v12
	v_lshl_or_b32 v7, v7, 9, 0x7c00
	v_lshrrev_b32_e32 v17, 8, v4
	v_cndmask_b32_e64 v15, v16, v15, s0
	v_cmp_gt_i32_e64 s0, 31, v18
	v_and_b32_e32 v16, 7, v15
	v_cndmask_b32_e64 v13, 0x7c00, v13, s0
	v_cmp_ne_u32_e64 s0, 0, v3
	v_lshrrev_b32_e32 v15, 2, v15
	v_cmp_eq_u32_e64 s1, 3, v16
	v_cndmask_b32_e64 v3, 0, 1, s0
	v_cmp_eq_u32_e64 s0, 0x40f, v18
	v_lshrrev_b32_e32 v18, 16, v8
	v_and_or_b32 v3, 0xffe, v17, v3
	v_cndmask_b32_e64 v13, v13, v7, s0
	v_sub_nc_u32_e32 v7, 0x3f1, v19
	v_cmp_lt_i32_e64 s0, 5, v16
	v_or_b32_e32 v16, 0x1000, v3
	v_and_or_b32 v13, 0x8000, v18, v13
	v_med3_i32 v17, v7, 0, 13
	v_mul_f64 v[7:8], v[11:12], s[4:5]
	s_or_b32 s0, s1, s0
	v_lshrrev_b32_e32 v11, 16, v2
	v_add_co_ci_u32_e64 v12, s0, 0, v15, s0
	v_cmp_ne_u32_e64 s0, 0, v5
	v_lshrrev_b32_e32 v15, v17, v16
	v_mul_f16_sdwa v20, v75, v11 dst_sel:DWORD dst_unused:UNUSED_PAD src0_sel:WORD_1 src1_sel:DWORD
	v_and_b32_e32 v13, 0xffff, v13
	v_cndmask_b32_e64 v5, 0, 1, s0
	v_cmp_gt_i32_e64 s0, 31, v14
	v_lshlrev_b32_e32 v17, v17, v15
	v_fmac_f16_e32 v20, v75, v2
	v_mul_f16_sdwa v2, v75, v2 dst_sel:DWORD dst_unused:UNUSED_PAD src0_sel:WORD_1 src1_sel:DWORD
	v_lshl_or_b32 v5, v5, 9, 0x7c00
	v_cndmask_b32_e64 v12, 0x7c00, v12, s0
	v_cmp_eq_u32_e64 s0, 0x40f, v14
	v_fma_f16 v2, v75, v11, -v2
	v_cndmask_b32_e64 v5, v12, v5, s0
	v_cmp_ne_u32_e64 s0, v17, v16
	v_and_or_b32 v7, 0x1ff, v8, v7
	v_cvt_f32_f16_e32 v12, v20
	v_add_nc_u32_e32 v16, 0xfffffc10, v19
	v_and_or_b32 v17, 0x8000, v6, v5
	v_cndmask_b32_e64 v14, 0, 1, s0
	v_cmp_ne_u32_e64 s0, 0, v7
	v_cvt_f64_f32_e32 v[5:6], v12
	v_bfe_u32 v18, v8, 20, 11
	v_lshl_or_b32 v1, v17, 16, v13
	v_or_b32_e32 v12, v15, v14
	v_lshl_or_b32 v14, v16, 12, v3
	v_cndmask_b32_e64 v7, 0, 1, s0
	v_lshrrev_b32_e32 v15, 8, v8
	v_cmp_gt_i32_e64 s0, 1, v16
	v_cvt_f32_f16_e32 v11, v2
	v_lshrrev_b32_e32 v8, 16, v8
	v_and_or_b32 v7, 0xffe, v15, v7
	v_cndmask_b32_e64 v12, v14, v12, s0
	v_sub_nc_u32_e32 v14, 0x3f1, v18
	v_add_co_u32 v9, s0, v9, s8
	v_or_b32_e32 v15, 0x1000, v7
	v_and_b32_e32 v13, 7, v12
	v_med3_i32 v14, v14, 0, 13
	v_add_co_ci_u32_e64 v10, s0, s9, v10, s0
	v_cmp_lt_i32_e64 s0, 5, v13
	v_lshrrev_b32_e32 v17, v14, v15
	v_cmp_eq_u32_e64 s1, 3, v13
	v_mul_f64 v[5:6], v[5:6], s[4:5]
	global_store_dword v[9:10], v1, off
	v_lshrrev_b32_e32 v1, 2, v12
	v_lshlrev_b32_e32 v12, v14, v17
	s_or_b32 s0, s1, s0
	v_add_co_u32 v9, s2, v9, s6
	v_add_co_ci_u32_e64 v13, s0, 0, v1, s0
	v_cmp_ne_u32_e64 s0, v12, v15
	v_add_nc_u32_e32 v1, 0x1800, v71
	v_add_nc_u32_e32 v15, 0xfffffc10, v18
	v_cvt_f64_f32_e32 v[11:12], v11
	v_add_co_ci_u32_e64 v10, s2, s7, v10, s2
	v_cndmask_b32_e64 v14, 0, 1, s0
	v_cmp_ne_u32_e64 s0, 0, v3
	ds_read2_b32 v[1:2], v1 offset0:39 offset1:165
	v_or_b32_e32 v14, v17, v14
	v_cndmask_b32_e64 v3, 0, 1, s0
	v_cmp_gt_i32_e64 s0, 31, v16
	v_lshl_or_b32 v17, v15, 12, v7
	v_and_or_b32 v5, 0x1ff, v6, v5
	v_bfe_u32 v18, v6, 20, 11
	v_lshl_or_b32 v3, v3, 9, 0x7c00
	v_cndmask_b32_e64 v13, 0x7c00, v13, s0
	v_cmp_gt_i32_e64 s0, 1, v15
	v_sub_nc_u32_e32 v19, 0x3f1, v18
	v_add_nc_u32_e32 v18, 0xfffffc10, v18
	v_cndmask_b32_e64 v14, v17, v14, s0
	v_cmp_ne_u32_e64 s0, 0, v5
	v_lshrrev_b32_e32 v17, 8, v6
	v_lshrrev_b32_e32 v6, 16, v6
	s_waitcnt lgkmcnt(0)
	v_lshrrev_b32_e32 v20, 16, v1
	v_cndmask_b32_e64 v5, 0, 1, s0
	v_cmp_eq_u32_e64 s0, 0x40f, v16
	v_and_b32_e32 v16, 7, v14
	v_lshrrev_b32_e32 v14, 2, v14
	v_and_or_b32 v5, 0xffe, v17, v5
	v_cndmask_b32_e64 v13, v13, v3, s0
	v_cmp_lt_i32_e64 s0, 5, v16
	v_cmp_eq_u32_e64 s1, 3, v16
	v_lshrrev_b32_e32 v17, 16, v4
	v_mul_f64 v[3:4], v[11:12], s[4:5]
	v_or_b32_e32 v21, 0x1000, v5
	v_med3_i32 v11, v19, 0, 13
	v_mul_f16_sdwa v12, v74, v20 dst_sel:DWORD dst_unused:UNUSED_PAD src0_sel:WORD_1 src1_sel:DWORD
	s_or_b32 s0, s1, s0
	v_and_or_b32 v13, 0x8000, v17, v13
	v_add_co_ci_u32_e64 v14, s0, 0, v14, s0
	v_lshrrev_b32_e32 v16, v11, v21
	v_cmp_ne_u32_e64 s0, 0, v7
	v_fmac_f16_e32 v12, v74, v1
	v_and_b32_e32 v13, 0xffff, v13
	v_mul_f16_sdwa v1, v74, v1 dst_sel:DWORD dst_unused:UNUSED_PAD src0_sel:WORD_1 src1_sel:DWORD
	v_lshlrev_b32_e32 v17, v11, v16
	v_cndmask_b32_e64 v7, 0, 1, s0
	v_cmp_gt_i32_e64 s0, 31, v15
	v_cvt_f32_f16_e32 v12, v12
	v_fma_f16 v1, v74, v20, -v1
	v_lshl_or_b32 v7, v7, 9, 0x7c00
	v_cndmask_b32_e64 v14, 0x7c00, v14, s0
	v_cmp_ne_u32_e64 s0, v17, v21
	v_cvt_f64_f32_e32 v[11:12], v12
	v_and_or_b32 v3, 0x1ff, v4, v3
	v_cvt_f32_f16_e32 v1, v1
	v_cndmask_b32_e64 v17, 0, 1, s0
	v_cmp_eq_u32_e64 s0, 0x40f, v15
	v_lshl_or_b32 v15, v18, 12, v5
	v_cndmask_b32_e64 v7, v14, v7, s0
	v_cmp_ne_u32_e64 s0, 0, v3
	v_or_b32_e32 v14, v16, v17
	v_lshrrev_b32_e32 v16, 8, v4
	v_bfe_u32 v17, v4, 20, 11
	v_cndmask_b32_e64 v3, 0, 1, s0
	v_cmp_gt_i32_e64 s0, 1, v18
	v_and_or_b32 v3, 0xffe, v16, v3
	v_sub_nc_u32_e32 v16, 0x3f1, v17
	v_cndmask_b32_e64 v14, v15, v14, s0
	v_and_or_b32 v15, 0x8000, v8, v7
	v_mul_f64 v[7:8], v[11:12], s[4:5]
	v_or_b32_e32 v21, 0x1000, v3
	v_med3_i32 v11, v16, 0, 13
	v_and_b32_e32 v19, 7, v14
	v_lshl_or_b32 v13, v15, 16, v13
	v_lshrrev_b32_e32 v12, 2, v14
	v_lshrrev_b32_e32 v15, v11, v21
	v_cmp_lt_i32_e64 s0, 5, v19
	v_cmp_eq_u32_e64 s1, 3, v19
	v_lshlrev_b32_e32 v11, v11, v15
	s_or_b32 s0, s1, s0
	v_add_co_ci_u32_e64 v14, s0, 0, v12, s0
	v_cmp_ne_u32_e64 s0, v11, v21
	v_cvt_f64_f32_e32 v[11:12], v1
	v_add_nc_u32_e32 v1, 0xfffffc10, v17
	v_and_or_b32 v7, 0x1ff, v8, v7
	v_cndmask_b32_e64 v16, 0, 1, s0
	v_cmp_gt_i32_e64 s0, 31, v18
	v_lshrrev_b32_e32 v17, 8, v8
	v_bfe_u32 v19, v8, 20, 11
	v_lshrrev_b32_e32 v8, 16, v8
	v_or_b32_e32 v15, v15, v16
	v_cndmask_b32_e64 v14, 0x7c00, v14, s0
	v_cmp_ne_u32_e64 s0, 0, v7
	v_lshl_or_b32 v16, v1, 12, v3
	v_cndmask_b32_e64 v7, 0, 1, s0
	v_cmp_ne_u32_e64 s0, 0, v5
	v_and_or_b32 v7, 0xffe, v17, v7
	v_cndmask_b32_e64 v5, 0, 1, s0
	v_cmp_gt_i32_e64 s0, 1, v1
	v_lshrrev_b32_e32 v17, 16, v0
	v_mul_f64 v[11:12], v[11:12], s[4:5]
	v_or_b32_e32 v21, 0x1000, v7
	v_lshl_or_b32 v5, v5, 9, 0x7c00
	v_cndmask_b32_e64 v15, v16, v15, s0
	v_sub_nc_u32_e32 v16, 0x3f1, v19
	v_cmp_eq_u32_e64 s0, 0x40f, v18
	v_mul_f16_sdwa v22, v73, v17 dst_sel:DWORD dst_unused:UNUSED_PAD src0_sel:WORD_1 src1_sel:DWORD
	v_add_nc_u32_e32 v19, 0xfffffc10, v19
	v_and_b32_e32 v20, 7, v15
	v_med3_i32 v16, v16, 0, 13
	v_cndmask_b32_e64 v5, v14, v5, s0
	v_fmac_f16_e32 v22, v73, v0
	v_mul_f16_sdwa v0, v73, v0 dst_sel:DWORD dst_unused:UNUSED_PAD src0_sel:WORD_1 src1_sel:DWORD
	v_cmp_lt_i32_e64 s0, 5, v20
	v_lshrrev_b32_e32 v14, v16, v21
	v_cmp_eq_u32_e64 s1, 3, v20
	v_and_or_b32 v18, 0x8000, v6, v5
	v_lshrrev_b32_e32 v5, 2, v15
	v_cvt_f32_f16_e32 v15, v22
	v_lshlrev_b32_e32 v6, v16, v14
	s_or_b32 s0, s1, s0
	v_fma_f16 v0, v73, v17, -v0
	v_add_co_ci_u32_e64 v16, s0, 0, v5, s0
	v_cmp_ne_u32_e64 s0, v6, v21
	v_cvt_f64_f32_e32 v[5:6], v15
	v_lshl_or_b32 v15, v19, 12, v7
	v_and_or_b32 v11, 0x1ff, v12, v11
	v_cvt_f32_f16_e32 v0, v0
	v_cndmask_b32_e64 v20, 0, 1, s0
	v_cmp_ne_u32_e64 s0, 0, v3
	v_or_b32_e32 v14, v14, v20
	v_cndmask_b32_e64 v3, 0, 1, s0
	v_cmp_gt_i32_e64 s0, 31, v1
	v_bfe_u32 v20, v12, 20, 11
	v_lshl_or_b32 v3, v3, 9, 0x7c00
	v_cndmask_b32_e64 v16, 0x7c00, v16, s0
	v_cmp_gt_i32_e64 s0, 1, v19
	v_cndmask_b32_e64 v14, v15, v14, s0
	v_cmp_ne_u32_e64 s0, 0, v11
	v_lshrrev_b32_e32 v15, 8, v12
	v_lshrrev_b32_e32 v12, 16, v12
	v_and_b32_e32 v21, 7, v14
	v_cndmask_b32_e64 v11, 0, 1, s0
	v_cmp_eq_u32_e64 s0, 0x40f, v1
	v_lshrrev_b32_e32 v14, 2, v14
	v_cmp_eq_u32_e64 s1, 3, v21
	v_and_or_b32 v11, 0xffe, v15, v11
	v_sub_nc_u32_e32 v15, 0x3f1, v20
	v_cndmask_b32_e64 v1, v16, v3, s0
	v_cmp_lt_i32_e64 s0, 5, v21
	v_lshrrev_b32_e32 v16, 16, v4
	v_mul_f64 v[3:4], v[5:6], s[4:5]
	v_or_b32_e32 v5, 0x1000, v11
	v_med3_i32 v6, v15, 0, 13
	s_or_b32 s0, s1, s0
	v_and_or_b32 v1, 0x8000, v16, v1
	v_add_co_ci_u32_e64 v14, s0, 0, v14, s0
	v_and_b32_e32 v15, 0xffff, v18
	v_lshrrev_b32_e32 v16, v6, v5
	v_cmp_ne_u32_e64 s0, 0, v7
	v_lshl_or_b32 v15, v1, 16, v15
	v_lshlrev_b32_e32 v1, v6, v16
	v_cndmask_b32_e64 v7, 0, 1, s0
	v_cmp_gt_i32_e64 s0, 31, v19
	v_lshl_or_b32 v7, v7, 9, 0x7c00
	v_cndmask_b32_e64 v6, 0x7c00, v14, s0
	v_cmp_ne_u32_e64 s0, v1, v5
	v_and_or_b32 v3, 0x1ff, v4, v3
	v_add_nc_u32_e32 v14, 0xfffffc10, v20
	v_bfe_u32 v17, v4, 20, 11
	v_cndmask_b32_e64 v1, 0, 1, s0
	v_cmp_eq_u32_e64 s0, 0x40f, v19
	v_lshrrev_b32_e32 v19, 16, v2
	v_or_b32_e32 v5, v16, v1
	v_cndmask_b32_e64 v7, v6, v7, s0
	v_cmp_ne_u32_e64 s0, 0, v3
	v_lshrrev_b32_e32 v16, 8, v4
	v_lshl_or_b32 v6, v14, 12, v11
	v_cvt_f64_f32_e32 v[0:1], v0
	v_mul_f16_sdwa v22, v72, v19 dst_sel:DWORD dst_unused:UNUSED_PAD src0_sel:WORD_1 src1_sel:DWORD
	v_cndmask_b32_e64 v3, 0, 1, s0
	v_cmp_gt_i32_e64 s0, 1, v14
	v_and_or_b32 v23, 0x8000, v8, v7
	v_lshrrev_b32_e32 v4, 16, v4
	v_fmac_f16_e32 v22, v72, v2
	v_and_or_b32 v16, 0xffe, v16, v3
	v_sub_nc_u32_e32 v3, 0x3f1, v17
	v_cndmask_b32_e64 v18, v6, v5, s0
	v_add_co_u32 v5, s0, v9, s8
	v_or_b32_e32 v21, 0x1000, v16
	v_med3_i32 v3, v3, 0, 13
	v_and_b32_e32 v20, 7, v18
	v_add_co_ci_u32_e64 v6, s0, s9, v10, s0
	v_lshrrev_b32_e32 v7, 2, v18
	v_lshrrev_b32_e32 v28, v3, v21
	v_cmp_lt_i32_e64 s0, 5, v20
	v_cmp_eq_u32_e64 s1, 3, v20
	v_cvt_f32_f16_e32 v8, v22
	v_mul_f64 v[0:1], v[0:1], s[4:5]
	v_lshlrev_b32_e32 v3, v3, v28
	v_add_nc_u32_e32 v17, 0xfffffc10, v17
	s_or_b32 s0, s1, s0
	v_mul_f16_sdwa v2, v72, v2 dst_sel:DWORD dst_unused:UNUSED_PAD src0_sel:WORD_1 src1_sel:DWORD
	v_add_co_ci_u32_e64 v18, s0, 0, v7, s0
	v_cmp_ne_u32_e64 s0, v3, v21
	v_cvt_f64_f32_e32 v[7:8], v8
	v_lshl_or_b32 v20, v17, 12, v16
	v_fma_f16 v2, v72, v19, -v2
	v_cndmask_b32_e64 v3, 0, 1, s0
	v_cmp_ne_u32_e64 s0, 0, v11
	v_cvt_f32_f16_e32 v2, v2
	v_or_b32_e32 v3, v28, v3
	v_cndmask_b32_e64 v11, 0, 1, s0
	v_cmp_gt_i32_e64 s0, 31, v14
	v_and_or_b32 v0, 0x1ff, v1, v0
	v_lshl_or_b32 v11, v11, 9, 0x7c00
	v_cndmask_b32_e64 v18, 0x7c00, v18, s0
	v_cmp_gt_i32_e64 s0, 1, v17
	v_cndmask_b32_e64 v19, v20, v3, s0
	v_cmp_eq_u32_e64 s0, 0x40f, v14
	v_mul_f64 v[7:8], v[7:8], s[4:5]
	v_cvt_f64_f32_e32 v[2:3], v2
	v_bfe_u32 v20, v1, 20, 11
	v_and_b32_e32 v14, 7, v19
	v_cndmask_b32_e64 v11, v18, v11, s0
	v_cmp_ne_u32_e64 s0, 0, v0
	v_lshrrev_b32_e32 v18, 8, v1
	v_lshrrev_b32_e32 v1, 16, v1
	v_cmp_eq_u32_e64 s1, 3, v14
	v_and_or_b32 v11, 0x8000, v12, v11
	v_and_b32_e32 v12, 0xffff, v23
	v_cndmask_b32_e64 v0, 0, 1, s0
	v_cmp_lt_i32_e64 s0, 5, v14
	v_lshl_or_b32 v11, v11, 16, v12
	v_lshrrev_b32_e32 v12, 2, v19
	v_and_or_b32 v0, 0xffe, v18, v0
	v_sub_nc_u32_e32 v18, 0x3f1, v20
	s_or_b32 s0, s1, s0
	v_add_co_ci_u32_e64 v12, s0, 0, v12, s0
	v_or_b32_e32 v14, 0x1000, v0
	v_med3_i32 v18, v18, 0, 13
	v_cmp_ne_u32_e64 s0, 0, v16
	v_and_or_b32 v7, 0x1ff, v8, v7
	v_mul_f64 v[2:3], v[2:3], s[4:5]
	v_lshrrev_b32_e32 v21, 8, v8
	v_lshrrev_b32_e32 v19, v18, v14
	v_cndmask_b32_e64 v16, 0, 1, s0
	v_cmp_gt_i32_e64 s0, 31, v17
	v_bfe_u32 v22, v8, 20, 11
	v_lshrrev_b32_e32 v8, 16, v8
	v_lshlrev_b32_e32 v18, v18, v19
	v_lshl_or_b32 v16, v16, 9, 0x7c00
	v_cndmask_b32_e64 v12, 0x7c00, v12, s0
	v_cmp_ne_u32_e64 s0, 0, v7
	v_cndmask_b32_e64 v7, 0, 1, s0
	v_cmp_ne_u32_e64 s0, v18, v14
	v_add_nc_u32_e32 v18, 0xfffffc10, v20
	v_sub_nc_u32_e32 v20, 0x3f1, v22
	v_and_or_b32 v7, 0xffe, v21, v7
	v_cndmask_b32_e64 v14, 0, 1, s0
	v_cmp_eq_u32_e64 s0, 0x40f, v17
	v_and_or_b32 v2, 0x1ff, v3, v2
	v_bfe_u32 v21, v3, 20, 11
	v_or_b32_e32 v17, 0x1000, v7
	v_or_b32_e32 v14, v19, v14
	v_cndmask_b32_e64 v12, v12, v16, s0
	v_lshl_or_b32 v16, v18, 12, v0
	v_med3_i32 v19, v20, 0, 13
	v_cmp_gt_i32_e64 s0, 1, v18
	v_lshrrev_b32_e32 v20, 8, v3
	v_and_or_b32 v4, 0x8000, v4, v12
	v_sub_nc_u32_e32 v12, 0x3f1, v21
	v_cndmask_b32_e64 v14, v16, v14, s0
	v_lshrrev_b32_e32 v16, v19, v17
	v_cmp_ne_u32_e64 s0, 0, v2
	v_med3_i32 v12, v12, 0, 13
	v_and_b32_e32 v23, 7, v14
	v_lshlrev_b32_e32 v19, v19, v16
	v_cndmask_b32_e64 v2, 0, 1, s0
	v_lshrrev_b32_e32 v14, 2, v14
	v_cmp_lt_i32_e64 s0, 5, v23
	v_cmp_ne_u32_e64 s1, v19, v17
	v_and_or_b32 v2, 0xffe, v20, v2
	v_add_nc_u32_e32 v20, 0xfffffc10, v22
	v_cndmask_b32_e64 v17, 0, 1, s1
	v_cmp_eq_u32_e64 s1, 3, v23
	v_or_b32_e32 v19, 0x1000, v2
	v_lshl_or_b32 v22, v20, 12, v7
	v_or_b32_e32 v16, v16, v17
	s_or_b32 s0, s1, s0
	v_lshrrev_b32_e32 v17, v12, v19
	v_add_co_ci_u32_e64 v14, s0, 0, v14, s0
	v_cmp_gt_i32_e64 s0, 1, v20
	v_lshlrev_b32_e32 v12, v12, v17
	v_cndmask_b32_e64 v16, v22, v16, s0
	v_cmp_ne_u32_e64 s0, 0, v0
	v_cndmask_b32_e64 v0, 0, 1, s0
	v_cmp_ne_u32_e64 s0, v12, v19
	v_add_nc_u32_e32 v19, 0xfffffc10, v21
	v_and_b32_e32 v21, 7, v16
	v_lshl_or_b32 v0, v0, 9, 0x7c00
	v_cndmask_b32_e64 v12, 0, 1, s0
	v_cmp_gt_i32_e64 s0, 31, v18
	v_cmp_gt_i32_e64 s2, 1, v19
	v_cmp_eq_u32_e64 s1, 3, v21
	v_or_b32_e32 v12, v17, v12
	v_lshl_or_b32 v17, v19, 12, v2
	v_cndmask_b32_e64 v14, 0x7c00, v14, s0
	v_cmp_lt_i32_e64 s0, 5, v21
	v_cndmask_b32_e64 v12, v17, v12, s2
	v_cmp_eq_u32_e64 s2, 0x40f, v18
	s_or_b32 s0, s1, s0
	v_cndmask_b32_e64 v0, v14, v0, s2
	v_lshrrev_b32_e32 v14, 2, v16
	v_and_b32_e32 v16, 7, v12
	v_lshrrev_b32_e32 v12, 2, v12
	v_cmp_gt_i32_e64 s2, 31, v20
	v_and_or_b32 v0, 0x8000, v1, v0
	v_add_co_ci_u32_e64 v14, s0, 0, v14, s0
	v_cmp_ne_u32_e64 s0, 0, v7
	v_cmp_eq_u32_e64 s1, 3, v16
	v_and_b32_e32 v1, 0xffff, v4
	v_cndmask_b32_e64 v14, 0x7c00, v14, s2
	v_cndmask_b32_e64 v7, 0, 1, s0
	v_cmp_lt_i32_e64 s0, 5, v16
	v_lshl_or_b32 v7, v7, 9, 0x7c00
	s_or_b32 s0, s1, s0
	v_add_co_ci_u32_e64 v12, s0, 0, v12, s0
	v_cmp_ne_u32_e64 s0, 0, v2
	v_cndmask_b32_e64 v2, 0, 1, s0
	v_cmp_eq_u32_e64 s0, 0x40f, v20
	v_lshl_or_b32 v2, v2, 9, 0x7c00
	v_cndmask_b32_e64 v7, v14, v7, s0
	v_cmp_gt_i32_e64 s0, 31, v19
	v_and_or_b32 v4, 0x8000, v8, v7
	v_cndmask_b32_e64 v12, 0x7c00, v12, s0
	v_cmp_eq_u32_e64 s0, 0x40f, v19
	v_lshrrev_b32_e32 v8, 16, v3
	v_cndmask_b32_e64 v7, v12, v2, s0
	v_add_co_u32 v2, s0, v5, s6
	v_add_co_ci_u32_e64 v3, s0, s7, v6, s0
	v_lshl_or_b32 v12, v0, 16, v1
	v_and_or_b32 v0, 0x8000, v8, v7
	v_and_b32_e32 v1, 0xffff, v4
	v_add_co_u32 v7, s0, v2, s8
	v_add_co_ci_u32_e64 v8, s0, s9, v3, s0
	v_lshl_or_b32 v4, v0, 16, v1
	v_add_co_u32 v0, s0, v7, s6
	v_add_co_ci_u32_e64 v1, s0, s7, v8, s0
	global_store_dword v[9:10], v13, off
	global_store_dword v[5:6], v15, off
	;; [unrolled: 1-line block ×5, first 2 shown]
	s_and_b32 exec_lo, exec_lo, vcc_lo
	s_cbranch_execz .LBB0_23
; %bb.22:
	global_load_dword v2, v[24:25], off offset:1480
	ds_read_b32 v3, v71 offset:3528
	ds_read_b32 v6, v71 offset:7308
	s_waitcnt lgkmcnt(1)
	v_lshrrev_b32_e32 v4, 16, v3
	s_waitcnt vmcnt(0)
	v_mul_f16_sdwa v5, v4, v2 dst_sel:DWORD dst_unused:UNUSED_PAD src0_sel:DWORD src1_sel:WORD_1
	v_mul_f16_sdwa v7, v3, v2 dst_sel:DWORD dst_unused:UNUSED_PAD src0_sel:DWORD src1_sel:WORD_1
	v_fmac_f16_e32 v5, v3, v2
	v_fma_f16 v2, v2, v4, -v7
	v_cvt_f32_f16_e32 v3, v5
	v_cvt_f32_f16_e32 v4, v2
	v_cvt_f64_f32_e32 v[2:3], v3
	v_cvt_f64_f32_e32 v[4:5], v4
	v_mul_f64 v[2:3], v[2:3], s[4:5]
	v_mul_f64 v[4:5], v[4:5], s[4:5]
	v_and_or_b32 v2, 0x1ff, v3, v2
	v_and_or_b32 v4, 0x1ff, v5, v4
	v_lshrrev_b32_e32 v7, 8, v3
	v_bfe_u32 v8, v3, 20, 11
	v_lshrrev_b32_e32 v9, 8, v5
	v_cmp_ne_u32_e32 vcc_lo, 0, v2
	v_bfe_u32 v10, v5, 20, 11
	v_lshrrev_b32_e32 v3, 16, v3
	v_sub_nc_u32_e32 v11, 0x3f1, v8
	v_add_nc_u32_e32 v8, 0xfffffc10, v8
	v_cndmask_b32_e64 v2, 0, 1, vcc_lo
	v_cmp_ne_u32_e32 vcc_lo, 0, v4
	v_lshrrev_b32_e32 v5, 16, v5
	v_and_or_b32 v2, 0xffe, v7, v2
	v_cndmask_b32_e64 v4, 0, 1, vcc_lo
	v_sub_nc_u32_e32 v7, 0x3f1, v10
	v_add_nc_u32_e32 v10, 0xfffffc10, v10
	v_and_or_b32 v4, 0xffe, v9, v4
	v_med3_i32 v9, v11, 0, 13
	v_or_b32_e32 v11, 0x1000, v2
	v_med3_i32 v7, v7, 0, 13
	v_or_b32_e32 v12, 0x1000, v4
	v_lshrrev_b32_e32 v13, v9, v11
	v_lshrrev_b32_e32 v14, v7, v12
	v_lshlrev_b32_e32 v9, v9, v13
	v_lshlrev_b32_e32 v7, v7, v14
	v_cmp_ne_u32_e32 vcc_lo, v9, v11
	v_lshl_or_b32 v11, v8, 12, v2
	v_cndmask_b32_e64 v9, 0, 1, vcc_lo
	v_cmp_ne_u32_e32 vcc_lo, v7, v12
	v_lshl_or_b32 v12, v10, 12, v4
	v_or_b32_e32 v9, v13, v9
	v_cndmask_b32_e64 v7, 0, 1, vcc_lo
	v_cmp_gt_i32_e32 vcc_lo, 1, v8
	v_or_b32_e32 v7, v14, v7
	v_cndmask_b32_e32 v9, v11, v9, vcc_lo
	v_cmp_gt_i32_e32 vcc_lo, 1, v10
	v_and_b32_e32 v11, 7, v9
	v_cndmask_b32_e32 v7, v12, v7, vcc_lo
	v_cmp_ne_u32_e32 vcc_lo, 0, v2
	v_lshrrev_b32_e32 v9, 2, v9
	v_cmp_eq_u32_e64 s0, 3, v11
	v_and_b32_e32 v12, 7, v7
	v_cndmask_b32_e64 v2, 0, 1, vcc_lo
	v_cmp_ne_u32_e32 vcc_lo, 0, v4
	v_lshrrev_b32_e32 v7, 2, v7
	v_cmp_lt_i32_e64 s1, 5, v12
	v_cmp_eq_u32_e64 s2, 3, v12
	v_cndmask_b32_e64 v4, 0, 1, vcc_lo
	v_cmp_lt_i32_e32 vcc_lo, 5, v11
	v_lshl_or_b32 v2, v2, 9, 0x7c00
	v_lshl_or_b32 v4, v4, 9, 0x7c00
	s_or_b32 vcc_lo, s0, vcc_lo
	v_add_co_ci_u32_e32 v9, vcc_lo, 0, v9, vcc_lo
	s_or_b32 vcc_lo, s2, s1
	v_add_co_ci_u32_e32 v7, vcc_lo, 0, v7, vcc_lo
	v_cmp_gt_i32_e32 vcc_lo, 31, v8
	v_cndmask_b32_e32 v9, 0x7c00, v9, vcc_lo
	v_cmp_gt_i32_e32 vcc_lo, 31, v10
	v_cndmask_b32_e32 v7, 0x7c00, v7, vcc_lo
	v_cmp_eq_u32_e32 vcc_lo, 0x40f, v8
	v_cndmask_b32_e32 v2, v9, v2, vcc_lo
	v_cmp_eq_u32_e32 vcc_lo, 0x40f, v10
	v_and_or_b32 v2, 0x8000, v3, v2
	v_cndmask_b32_e32 v4, v7, v4, vcc_lo
	v_add_co_u32 v0, vcc_lo, v0, s8
	v_add_co_ci_u32_e32 v1, vcc_lo, s9, v1, vcc_lo
	v_and_or_b32 v3, 0x8000, v5, v4
	v_and_b32_e32 v2, 0xffff, v2
	v_lshl_or_b32 v2, v3, 16, v2
	s_waitcnt lgkmcnt(0)
	v_lshrrev_b32_e32 v3, 16, v6
	global_store_dword v[0:1], v2, off
	global_load_dword v2, v[26:27], off offset:1164
	s_waitcnt vmcnt(0)
	v_mul_f16_sdwa v4, v3, v2 dst_sel:DWORD dst_unused:UNUSED_PAD src0_sel:DWORD src1_sel:WORD_1
	v_mul_f16_sdwa v5, v6, v2 dst_sel:DWORD dst_unused:UNUSED_PAD src0_sel:DWORD src1_sel:WORD_1
	v_fmac_f16_e32 v4, v6, v2
	v_fma_f16 v2, v2, v3, -v5
	v_cvt_f32_f16_e32 v3, v4
	v_cvt_f32_f16_e32 v4, v2
	v_cvt_f64_f32_e32 v[2:3], v3
	v_cvt_f64_f32_e32 v[4:5], v4
	v_mul_f64 v[2:3], v[2:3], s[4:5]
	v_mul_f64 v[4:5], v[4:5], s[4:5]
	v_and_or_b32 v2, 0x1ff, v3, v2
	v_and_or_b32 v4, 0x1ff, v5, v4
	v_lshrrev_b32_e32 v6, 8, v3
	v_bfe_u32 v7, v3, 20, 11
	v_lshrrev_b32_e32 v8, 8, v5
	v_cmp_ne_u32_e32 vcc_lo, 0, v2
	v_bfe_u32 v9, v5, 20, 11
	v_lshrrev_b32_e32 v3, 16, v3
	v_sub_nc_u32_e32 v10, 0x3f1, v7
	v_add_nc_u32_e32 v7, 0xfffffc10, v7
	v_cndmask_b32_e64 v2, 0, 1, vcc_lo
	v_cmp_ne_u32_e32 vcc_lo, 0, v4
	v_lshrrev_b32_e32 v5, 16, v5
	v_and_or_b32 v2, 0xffe, v6, v2
	v_cndmask_b32_e64 v4, 0, 1, vcc_lo
	v_sub_nc_u32_e32 v6, 0x3f1, v9
	v_add_nc_u32_e32 v9, 0xfffffc10, v9
	v_and_or_b32 v4, 0xffe, v8, v4
	v_med3_i32 v8, v10, 0, 13
	v_or_b32_e32 v10, 0x1000, v2
	v_med3_i32 v6, v6, 0, 13
	v_or_b32_e32 v11, 0x1000, v4
	v_lshrrev_b32_e32 v12, v8, v10
	v_lshrrev_b32_e32 v13, v6, v11
	v_lshlrev_b32_e32 v8, v8, v12
	v_lshlrev_b32_e32 v6, v6, v13
	v_cmp_ne_u32_e32 vcc_lo, v8, v10
	v_lshl_or_b32 v10, v7, 12, v2
	v_cndmask_b32_e64 v8, 0, 1, vcc_lo
	v_cmp_ne_u32_e32 vcc_lo, v6, v11
	v_lshl_or_b32 v11, v9, 12, v4
	v_or_b32_e32 v8, v12, v8
	v_cndmask_b32_e64 v6, 0, 1, vcc_lo
	v_cmp_gt_i32_e32 vcc_lo, 1, v7
	v_or_b32_e32 v6, v13, v6
	v_cndmask_b32_e32 v8, v10, v8, vcc_lo
	v_cmp_gt_i32_e32 vcc_lo, 1, v9
	v_and_b32_e32 v10, 7, v8
	v_cndmask_b32_e32 v6, v11, v6, vcc_lo
	v_cmp_ne_u32_e32 vcc_lo, 0, v2
	v_lshrrev_b32_e32 v8, 2, v8
	v_cmp_eq_u32_e64 s0, 3, v10
	v_and_b32_e32 v11, 7, v6
	v_cndmask_b32_e64 v2, 0, 1, vcc_lo
	v_cmp_ne_u32_e32 vcc_lo, 0, v4
	v_lshrrev_b32_e32 v6, 2, v6
	v_cmp_lt_i32_e64 s1, 5, v11
	v_cmp_eq_u32_e64 s2, 3, v11
	v_cndmask_b32_e64 v4, 0, 1, vcc_lo
	v_cmp_lt_i32_e32 vcc_lo, 5, v10
	v_lshl_or_b32 v2, v2, 9, 0x7c00
	v_lshl_or_b32 v4, v4, 9, 0x7c00
	s_or_b32 vcc_lo, s0, vcc_lo
	v_add_co_ci_u32_e32 v8, vcc_lo, 0, v8, vcc_lo
	s_or_b32 vcc_lo, s2, s1
	v_add_co_ci_u32_e32 v6, vcc_lo, 0, v6, vcc_lo
	v_cmp_gt_i32_e32 vcc_lo, 31, v7
	v_cndmask_b32_e32 v8, 0x7c00, v8, vcc_lo
	v_cmp_gt_i32_e32 vcc_lo, 31, v9
	v_cndmask_b32_e32 v6, 0x7c00, v6, vcc_lo
	v_cmp_eq_u32_e32 vcc_lo, 0x40f, v7
	v_cndmask_b32_e32 v2, v8, v2, vcc_lo
	v_cmp_eq_u32_e32 vcc_lo, 0x40f, v9
	v_and_or_b32 v2, 0x8000, v3, v2
	v_cndmask_b32_e32 v4, v6, v4, vcc_lo
	v_add_co_u32 v0, vcc_lo, v0, s6
	v_add_co_ci_u32_e32 v1, vcc_lo, s7, v1, vcc_lo
	v_and_or_b32 v3, 0x8000, v5, v4
	v_and_b32_e32 v2, 0xffff, v2
	v_lshl_or_b32 v2, v3, 16, v2
	global_store_dword v[0:1], v2, off
.LBB0_23:
	s_endpgm
	.section	.rodata,"a",@progbits
	.p2align	6, 0x0
	.amdhsa_kernel bluestein_single_fwd_len1890_dim1_half_op_CI_CI
		.amdhsa_group_segment_fixed_size 7560
		.amdhsa_private_segment_fixed_size 0
		.amdhsa_kernarg_size 104
		.amdhsa_user_sgpr_count 6
		.amdhsa_user_sgpr_private_segment_buffer 1
		.amdhsa_user_sgpr_dispatch_ptr 0
		.amdhsa_user_sgpr_queue_ptr 0
		.amdhsa_user_sgpr_kernarg_segment_ptr 1
		.amdhsa_user_sgpr_dispatch_id 0
		.amdhsa_user_sgpr_flat_scratch_init 0
		.amdhsa_user_sgpr_private_segment_size 0
		.amdhsa_wavefront_size32 1
		.amdhsa_uses_dynamic_stack 0
		.amdhsa_system_sgpr_private_segment_wavefront_offset 0
		.amdhsa_system_sgpr_workgroup_id_x 1
		.amdhsa_system_sgpr_workgroup_id_y 0
		.amdhsa_system_sgpr_workgroup_id_z 0
		.amdhsa_system_sgpr_workgroup_info 0
		.amdhsa_system_vgpr_workitem_id 0
		.amdhsa_next_free_vgpr 195
		.amdhsa_next_free_sgpr 16
		.amdhsa_reserve_vcc 1
		.amdhsa_reserve_flat_scratch 0
		.amdhsa_float_round_mode_32 0
		.amdhsa_float_round_mode_16_64 0
		.amdhsa_float_denorm_mode_32 3
		.amdhsa_float_denorm_mode_16_64 3
		.amdhsa_dx10_clamp 1
		.amdhsa_ieee_mode 1
		.amdhsa_fp16_overflow 0
		.amdhsa_workgroup_processor_mode 1
		.amdhsa_memory_ordered 1
		.amdhsa_forward_progress 0
		.amdhsa_shared_vgpr_count 0
		.amdhsa_exception_fp_ieee_invalid_op 0
		.amdhsa_exception_fp_denorm_src 0
		.amdhsa_exception_fp_ieee_div_zero 0
		.amdhsa_exception_fp_ieee_overflow 0
		.amdhsa_exception_fp_ieee_underflow 0
		.amdhsa_exception_fp_ieee_inexact 0
		.amdhsa_exception_int_div_zero 0
	.end_amdhsa_kernel
	.text
.Lfunc_end0:
	.size	bluestein_single_fwd_len1890_dim1_half_op_CI_CI, .Lfunc_end0-bluestein_single_fwd_len1890_dim1_half_op_CI_CI
                                        ; -- End function
	.section	.AMDGPU.csdata,"",@progbits
; Kernel info:
; codeLenInByte = 29904
; NumSgprs: 18
; NumVgprs: 195
; ScratchSize: 0
; MemoryBound: 0
; FloatMode: 240
; IeeeMode: 1
; LDSByteSize: 7560 bytes/workgroup (compile time only)
; SGPRBlocks: 2
; VGPRBlocks: 24
; NumSGPRsForWavesPerEU: 18
; NumVGPRsForWavesPerEU: 195
; Occupancy: 4
; WaveLimiterHint : 1
; COMPUTE_PGM_RSRC2:SCRATCH_EN: 0
; COMPUTE_PGM_RSRC2:USER_SGPR: 6
; COMPUTE_PGM_RSRC2:TRAP_HANDLER: 0
; COMPUTE_PGM_RSRC2:TGID_X_EN: 1
; COMPUTE_PGM_RSRC2:TGID_Y_EN: 0
; COMPUTE_PGM_RSRC2:TGID_Z_EN: 0
; COMPUTE_PGM_RSRC2:TIDIG_COMP_CNT: 0
	.text
	.p2alignl 6, 3214868480
	.fill 48, 4, 3214868480
	.type	__hip_cuid_f6dcefb3473e9616,@object ; @__hip_cuid_f6dcefb3473e9616
	.section	.bss,"aw",@nobits
	.globl	__hip_cuid_f6dcefb3473e9616
__hip_cuid_f6dcefb3473e9616:
	.byte	0                               ; 0x0
	.size	__hip_cuid_f6dcefb3473e9616, 1

	.ident	"AMD clang version 19.0.0git (https://github.com/RadeonOpenCompute/llvm-project roc-6.4.0 25133 c7fe45cf4b819c5991fe208aaa96edf142730f1d)"
	.section	".note.GNU-stack","",@progbits
	.addrsig
	.addrsig_sym __hip_cuid_f6dcefb3473e9616
	.amdgpu_metadata
---
amdhsa.kernels:
  - .args:
      - .actual_access:  read_only
        .address_space:  global
        .offset:         0
        .size:           8
        .value_kind:     global_buffer
      - .actual_access:  read_only
        .address_space:  global
        .offset:         8
        .size:           8
        .value_kind:     global_buffer
      - .actual_access:  read_only
        .address_space:  global
        .offset:         16
        .size:           8
        .value_kind:     global_buffer
      - .actual_access:  read_only
        .address_space:  global
        .offset:         24
        .size:           8
        .value_kind:     global_buffer
      - .actual_access:  read_only
        .address_space:  global
        .offset:         32
        .size:           8
        .value_kind:     global_buffer
      - .offset:         40
        .size:           8
        .value_kind:     by_value
      - .address_space:  global
        .offset:         48
        .size:           8
        .value_kind:     global_buffer
      - .address_space:  global
        .offset:         56
        .size:           8
        .value_kind:     global_buffer
      - .address_space:  global
        .offset:         64
        .size:           8
        .value_kind:     global_buffer
      - .address_space:  global
        .offset:         72
        .size:           8
        .value_kind:     global_buffer
      - .offset:         80
        .size:           4
        .value_kind:     by_value
      - .address_space:  global
        .offset:         88
        .size:           8
        .value_kind:     global_buffer
      - .address_space:  global
        .offset:         96
        .size:           8
        .value_kind:     global_buffer
    .group_segment_fixed_size: 7560
    .kernarg_segment_align: 8
    .kernarg_segment_size: 104
    .language:       OpenCL C
    .language_version:
      - 2
      - 0
    .max_flat_workgroup_size: 126
    .name:           bluestein_single_fwd_len1890_dim1_half_op_CI_CI
    .private_segment_fixed_size: 0
    .sgpr_count:     18
    .sgpr_spill_count: 0
    .symbol:         bluestein_single_fwd_len1890_dim1_half_op_CI_CI.kd
    .uniform_work_group_size: 1
    .uses_dynamic_stack: false
    .vgpr_count:     195
    .vgpr_spill_count: 0
    .wavefront_size: 32
    .workgroup_processor_mode: 1
amdhsa.target:   amdgcn-amd-amdhsa--gfx1030
amdhsa.version:
  - 1
  - 2
...

	.end_amdgpu_metadata
